;; amdgpu-corpus repo=ROCm/rocFFT kind=compiled arch=gfx906 opt=O3
	.text
	.amdgcn_target "amdgcn-amd-amdhsa--gfx906"
	.amdhsa_code_object_version 6
	.protected	bluestein_single_back_len273_dim1_sp_op_CI_CI ; -- Begin function bluestein_single_back_len273_dim1_sp_op_CI_CI
	.globl	bluestein_single_back_len273_dim1_sp_op_CI_CI
	.p2align	8
	.type	bluestein_single_back_len273_dim1_sp_op_CI_CI,@function
bluestein_single_back_len273_dim1_sp_op_CI_CI: ; @bluestein_single_back_len273_dim1_sp_op_CI_CI
; %bb.0:
	s_load_dwordx4 s[8:11], s[4:5], 0x28
	v_mul_u32_u24_e32 v1, 0x13b2, v0
	v_lshrrev_b32_e32 v4, 16, v1
	v_lshl_add_u32 v118, s6, 2, v4
	v_mov_b32_e32 v119, 0
	s_waitcnt lgkmcnt(0)
	v_cmp_gt_u64_e32 vcc, s[8:9], v[118:119]
	s_and_saveexec_b64 s[0:1], vcc
	s_cbranch_execz .LBB0_15
; %bb.1:
	s_load_dwordx4 s[0:3], s[4:5], 0x18
	v_mul_lo_u16_e32 v1, 13, v4
	v_sub_u16_e32 v141, v0, v1
	v_lshlrev_b32_e32 v80, 3, v141
	v_and_b32_e32 v4, 3, v4
	s_waitcnt lgkmcnt(0)
	s_load_dwordx4 s[12:15], s[0:1], 0x0
	v_mul_u32_u24_e32 v81, 0x111, v4
	v_lshlrev_b32_e32 v143, 3, v81
	v_add_u32_e32 v142, v143, v80
	s_waitcnt lgkmcnt(0)
	v_mad_u64_u32 v[5:6], s[0:1], s12, v141, 0
	v_mad_u64_u32 v[0:1], s[0:1], s14, v118, 0
	v_mov_b32_e32 v2, v6
	v_mad_u64_u32 v[6:7], s[0:1], s15, v118, v[1:2]
	v_mad_u64_u32 v[2:3], s[0:1], s13, v141, v[2:3]
	v_mov_b32_e32 v1, v6
	v_lshlrev_b64 v[0:1], 3, v[0:1]
	v_mov_b32_e32 v3, s11
	v_mov_b32_e32 v6, v2
	v_add_co_u32_e32 v2, vcc, s10, v0
	v_addc_co_u32_e32 v3, vcc, v3, v1, vcc
	v_lshlrev_b64 v[0:1], 3, v[5:6]
	s_mul_i32 s0, s13, 21
	s_mul_hi_u32 s1, s12, 21
	v_add_co_u32_e32 v0, vcc, v2, v0
	s_add_i32 s1, s1, s0
	s_mul_i32 s0, s12, 21
	v_addc_co_u32_e32 v1, vcc, v3, v1, vcc
	s_lshl_b64 s[16:17], s[0:1], 3
	v_mov_b32_e32 v29, s17
	v_add_co_u32_e32 v5, vcc, s16, v0
	v_addc_co_u32_e32 v6, vcc, v1, v29, vcc
	v_add_co_u32_e32 v7, vcc, s16, v5
	v_addc_co_u32_e32 v8, vcc, v6, v29, vcc
	s_load_dwordx2 s[14:15], s[4:5], 0x0
	v_add_co_u32_e32 v9, vcc, s16, v7
	v_addc_co_u32_e32 v10, vcc, v8, v29, vcc
	global_load_dwordx2 v[11:12], v[0:1], off
	global_load_dwordx2 v[13:14], v[5:6], off
	;; [unrolled: 1-line block ×4, first 2 shown]
	s_waitcnt lgkmcnt(0)
	global_load_dwordx2 v[131:132], v80, s[14:15]
	global_load_dwordx2 v[129:130], v80, s[14:15] offset:168
	global_load_dwordx2 v[127:128], v80, s[14:15] offset:336
	;; [unrolled: 1-line block ×3, first 2 shown]
	v_add_co_u32_e32 v0, vcc, s16, v9
	v_addc_co_u32_e32 v1, vcc, v10, v29, vcc
	global_load_dwordx2 v[5:6], v[0:1], off
	global_load_dwordx2 v[121:122], v80, s[14:15] offset:672
	v_add_co_u32_e32 v0, vcc, s16, v0
	v_addc_co_u32_e32 v1, vcc, v1, v29, vcc
	global_load_dwordx2 v[7:8], v[0:1], off
	v_add_co_u32_e32 v0, vcc, s16, v0
	v_addc_co_u32_e32 v1, vcc, v1, v29, vcc
	global_load_dwordx2 v[9:10], v[0:1], off
	;; [unrolled: 3-line block ×3, first 2 shown]
	global_load_dwordx2 v[125:126], v80, s[14:15] offset:840
	global_load_dwordx2 v[119:120], v80, s[14:15] offset:1008
	;; [unrolled: 1-line block ×3, first 2 shown]
	v_add_co_u32_e32 v0, vcc, s16, v0
	v_addc_co_u32_e32 v1, vcc, v1, v29, vcc
	global_load_dwordx2 v[21:22], v[0:1], off
	global_load_dwordx2 v[114:115], v80, s[14:15] offset:1344
	v_add_co_u32_e32 v0, vcc, s16, v0
	v_addc_co_u32_e32 v1, vcc, v1, v29, vcc
	global_load_dwordx2 v[23:24], v[0:1], off
	v_add_co_u32_e32 v0, vcc, s16, v0
	v_addc_co_u32_e32 v1, vcc, v1, v29, vcc
	global_load_dwordx2 v[112:113], v80, s[14:15] offset:1512
	global_load_dwordx2 v[25:26], v[0:1], off
	global_load_dwordx2 v[110:111], v80, s[14:15] offset:1680
	v_add_co_u32_e32 v0, vcc, s16, v0
	v_addc_co_u32_e32 v1, vcc, v1, v29, vcc
	global_load_dwordx2 v[27:28], v[0:1], off
	global_load_dwordx2 v[108:109], v80, s[14:15] offset:1848
	v_add_co_u32_e32 v0, vcc, s16, v0
	v_addc_co_u32_e32 v1, vcc, v1, v29, vcc
	global_load_dwordx2 v[29:30], v[0:1], off
	global_load_dwordx2 v[106:107], v80, s[14:15] offset:2016
	v_mov_b32_e32 v4, s15
	v_add_co_u32_e32 v104, vcc, s14, v80
	v_addc_co_u32_e32 v105, vcc, 0, v4, vcc
	s_load_dwordx2 s[6:7], s[4:5], 0x38
	s_load_dwordx4 s[8:11], s[2:3], 0x0
	v_cmp_gt_u16_e32 vcc, 8, v141
	s_waitcnt vmcnt(21)
	v_mul_f32_e32 v31, v12, v132
	v_mul_f32_e32 v4, v11, v132
	v_fmac_f32_e32 v31, v11, v131
	v_fma_f32 v32, v12, v131, -v4
	s_waitcnt vmcnt(20)
	v_mul_f32_e32 v11, v14, v130
	v_mul_f32_e32 v4, v13, v130
	v_fmac_f32_e32 v11, v13, v129
	v_fma_f32 v12, v14, v129, -v4
	s_waitcnt vmcnt(19)
	v_mul_f32_e32 v4, v15, v128
	ds_write2_b64 v142, v[31:32], v[11:12] offset1:21
	v_fma_f32 v12, v16, v127, -v4
	s_waitcnt vmcnt(18)
	v_mul_f32_e32 v4, v17, v124
	v_fma_f32 v14, v18, v123, -v4
	s_waitcnt vmcnt(16)
	v_mul_f32_e32 v4, v6, v122
	v_fmac_f32_e32 v4, v5, v121
	v_mul_f32_e32 v5, v5, v122
	v_fma_f32 v5, v6, v121, -v5
	v_mul_f32_e32 v11, v16, v128
	v_mul_f32_e32 v13, v18, v124
	v_fmac_f32_e32 v11, v15, v127
	v_fmac_f32_e32 v13, v17, v123
	s_waitcnt vmcnt(12)
	v_mul_f32_e32 v6, v8, v126
	v_fmac_f32_e32 v6, v7, v125
	v_mul_f32_e32 v7, v7, v126
	v_fma_f32 v7, v8, v125, -v7
	ds_write2_b64 v142, v[4:5], v[6:7] offset0:84 offset1:105
	s_waitcnt vmcnt(11)
	v_mul_f32_e32 v4, v10, v120
	v_mul_f32_e32 v5, v9, v120
	s_waitcnt vmcnt(10)
	v_mul_f32_e32 v6, v20, v117
	v_mul_f32_e32 v7, v19, v117
	v_fmac_f32_e32 v4, v9, v119
	v_fma_f32 v5, v10, v119, -v5
	v_fmac_f32_e32 v6, v19, v116
	v_fma_f32 v7, v20, v116, -v7
	ds_write2_b64 v142, v[4:5], v[6:7] offset0:126 offset1:147
	s_waitcnt vmcnt(8)
	v_mul_f32_e32 v4, v22, v115
	v_mul_f32_e32 v5, v21, v115
	s_waitcnt vmcnt(6)
	v_mul_f32_e32 v6, v24, v113
	v_mul_f32_e32 v7, v23, v113
	v_fmac_f32_e32 v4, v21, v114
	v_fma_f32 v5, v22, v114, -v5
	v_fmac_f32_e32 v6, v23, v112
	;; [unrolled: 11-line block ×3, first 2 shown]
	v_fma_f32 v7, v28, v108, -v7
	ds_write2_b64 v142, v[4:5], v[6:7] offset0:210 offset1:231
	s_waitcnt vmcnt(0)
	v_mul_f32_e32 v4, v30, v107
	v_mul_f32_e32 v5, v29, v107
	v_fmac_f32_e32 v4, v29, v106
	v_fma_f32 v5, v30, v106, -v5
	ds_write2_b64 v142, v[11:12], v[13:14] offset0:42 offset1:63
	ds_write_b64 v142, v[4:5] offset:2016
	s_and_saveexec_b64 s[2:3], vcc
	s_cbranch_execz .LBB0_3
; %bb.2:
	v_mov_b32_e32 v4, 0xfffff888
	v_mad_u64_u32 v[0:1], s[0:1], s12, v4, v[0:1]
	s_mul_i32 s0, s13, 0xfffff888
	s_sub_i32 s0, s0, s12
	v_add_u32_e32 v1, s0, v1
	global_load_dwordx2 v[4:5], v[0:1], off
	v_mov_b32_e32 v51, s17
	v_add_co_u32_e64 v0, s[0:1], s16, v0
	v_addc_co_u32_e64 v1, s[0:1], v1, v51, s[0:1]
	global_load_dwordx2 v[6:7], v[0:1], off
	v_add_co_u32_e64 v0, s[0:1], s16, v0
	v_addc_co_u32_e64 v1, s[0:1], v1, v51, s[0:1]
	global_load_dwordx2 v[8:9], v[0:1], off
	;; [unrolled: 3-line block ×3, first 2 shown]
	global_load_dwordx2 v[12:13], v[104:105], off offset:104
	global_load_dwordx2 v[14:15], v[104:105], off offset:272
	global_load_dwordx2 v[16:17], v[104:105], off offset:440
	global_load_dwordx2 v[18:19], v[104:105], off offset:608
	v_add_co_u32_e64 v0, s[0:1], s16, v0
	v_or_b32_e32 v28, 0xa0, v141
	v_addc_co_u32_e64 v1, s[0:1], v1, v51, s[0:1]
	v_mad_u64_u32 v[24:25], s[0:1], s12, v28, 0
	global_load_dwordx2 v[20:21], v[0:1], off
	global_load_dwordx2 v[22:23], v[104:105], off offset:776
	v_add_co_u32_e64 v0, s[0:1], s16, v0
	v_addc_co_u32_e64 v1, s[0:1], v1, v51, s[0:1]
	global_load_dwordx2 v[26:27], v[0:1], off
	s_waitcnt vmcnt(0)
	v_mad_u64_u32 v[28:29], s[0:1], s13, v28, v[25:26]
	v_add_co_u32_e64 v0, s[0:1], s16, v0
	v_mov_b32_e32 v25, v28
	v_lshlrev_b64 v[24:25], 3, v[24:25]
	v_addc_co_u32_e64 v1, s[0:1], v1, v51, s[0:1]
	v_add_co_u32_e64 v2, s[0:1], v2, v24
	v_mov_b32_e32 v28, 0x150
	global_load_dwordx2 v[29:30], v[0:1], off
	v_addc_co_u32_e64 v3, s[0:1], v3, v25, s[0:1]
	v_mad_u64_u32 v[0:1], s[0:1], s12, v28, v[0:1]
	s_mul_i32 s0, s13, 0x150
	global_load_dwordx2 v[24:25], v[104:105], off offset:944
	v_add_u32_e32 v1, s0, v1
	global_load_dwordx2 v[2:3], v[2:3], off
	s_nop 0
	global_load_dwordx2 v[31:32], v[104:105], off offset:1112
	global_load_dwordx2 v[33:34], v[104:105], off offset:1280
	global_load_dwordx2 v[35:36], v[0:1], off
	global_load_dwordx2 v[37:38], v[104:105], off offset:1448
	v_add_co_u32_e64 v0, s[0:1], s16, v0
	v_addc_co_u32_e64 v1, s[0:1], v1, v51, s[0:1]
	global_load_dwordx2 v[39:40], v[0:1], off
	v_add_co_u32_e64 v0, s[0:1], s16, v0
	v_addc_co_u32_e64 v1, s[0:1], v1, v51, s[0:1]
	global_load_dwordx2 v[41:42], v[104:105], off offset:1616
	global_load_dwordx2 v[43:44], v[0:1], off
	global_load_dwordx2 v[45:46], v[104:105], off offset:1784
	v_add_co_u32_e64 v0, s[0:1], s16, v0
	v_addc_co_u32_e64 v1, s[0:1], v1, v51, s[0:1]
	global_load_dwordx2 v[47:48], v[0:1], off
	global_load_dwordx2 v[49:50], v[104:105], off offset:1952
	v_add_co_u32_e64 v0, s[0:1], s16, v0
	v_addc_co_u32_e64 v1, s[0:1], v1, v51, s[0:1]
	global_load_dwordx2 v[51:52], v[0:1], off
	global_load_dwordx2 v[53:54], v[104:105], off offset:2120
	v_mul_f32_e32 v0, v5, v13
	v_mul_f32_e32 v1, v4, v13
	v_fmac_f32_e32 v0, v4, v12
	v_fma_f32 v1, v5, v12, -v1
	v_mul_f32_e32 v4, v7, v15
	v_mul_f32_e32 v5, v6, v15
	v_fmac_f32_e32 v4, v6, v14
	v_fma_f32 v5, v7, v14, -v5
	ds_write2_b64 v142, v[0:1], v[4:5] offset0:13 offset1:34
	v_mul_f32_e32 v0, v9, v17
	v_mul_f32_e32 v1, v8, v17
	;; [unrolled: 1-line block ×4, first 2 shown]
	v_fmac_f32_e32 v0, v8, v16
	v_fma_f32 v1, v9, v16, -v1
	v_fmac_f32_e32 v4, v10, v18
	v_fma_f32 v5, v11, v18, -v5
	ds_write2_b64 v142, v[0:1], v[4:5] offset0:55 offset1:76
	v_mul_f32_e32 v0, v21, v23
	v_mul_f32_e32 v1, v20, v23
	v_fmac_f32_e32 v0, v20, v22
	v_fma_f32 v1, v21, v22, -v1
	s_waitcnt vmcnt(13)
	v_mul_f32_e32 v4, v27, v25
	v_mul_f32_e32 v5, v26, v25
	v_fmac_f32_e32 v4, v26, v24
	v_fma_f32 v5, v27, v24, -v5
	ds_write2_b64 v142, v[0:1], v[4:5] offset0:97 offset1:118
	s_waitcnt vmcnt(10)
	v_mul_f32_e32 v4, v3, v34
	v_mul_f32_e32 v0, v30, v32
	;; [unrolled: 1-line block ×3, first 2 shown]
	v_fmac_f32_e32 v4, v2, v33
	v_mul_f32_e32 v2, v2, v34
	v_fmac_f32_e32 v0, v29, v31
	v_fma_f32 v1, v30, v31, -v1
	v_fma_f32 v5, v3, v33, -v2
	ds_write2_b64 v142, v[0:1], v[4:5] offset0:139 offset1:160
	s_waitcnt vmcnt(8)
	v_mul_f32_e32 v0, v36, v38
	v_mul_f32_e32 v1, v35, v38
	s_waitcnt vmcnt(6)
	v_mul_f32_e32 v2, v40, v42
	v_mul_f32_e32 v3, v39, v42
	v_fmac_f32_e32 v0, v35, v37
	v_fma_f32 v1, v36, v37, -v1
	v_fmac_f32_e32 v2, v39, v41
	v_fma_f32 v3, v40, v41, -v3
	ds_write2_b64 v142, v[0:1], v[2:3] offset0:181 offset1:202
	s_waitcnt vmcnt(4)
	v_mul_f32_e32 v0, v44, v46
	v_mul_f32_e32 v1, v43, v46
	s_waitcnt vmcnt(2)
	v_mul_f32_e32 v2, v48, v50
	v_mul_f32_e32 v3, v47, v50
	v_fmac_f32_e32 v0, v43, v45
	v_fma_f32 v1, v44, v45, -v1
	v_fmac_f32_e32 v2, v47, v49
	v_fma_f32 v3, v48, v49, -v3
	ds_write2_b64 v142, v[0:1], v[2:3] offset0:223 offset1:244
	s_waitcnt vmcnt(0)
	v_mul_f32_e32 v0, v52, v54
	v_mul_f32_e32 v1, v51, v54
	v_fmac_f32_e32 v0, v51, v53
	v_fma_f32 v1, v52, v53, -v1
	ds_write_b64 v142, v[0:1] offset:2120
.LBB0_3:
	s_or_b64 exec, exec, s[2:3]
	s_waitcnt lgkmcnt(0)
	; wave barrier
	s_waitcnt lgkmcnt(0)
	ds_read2_b64 v[44:47], v142 offset1:21
	ds_read2_b64 v[36:39], v142 offset0:42 offset1:63
	ds_read2_b64 v[28:31], v142 offset0:84 offset1:105
	;; [unrolled: 1-line block ×5, first 2 shown]
	ds_read_b64 v[52:53], v142 offset:2016
	s_load_dwordx2 s[2:3], s[4:5], 0x8
	v_mov_b32_e32 v4, 0
	v_mov_b32_e32 v5, 0
                                        ; implicit-def: $vgpr10
                                        ; implicit-def: $vgpr12
                                        ; implicit-def: $vgpr24
                                        ; implicit-def: $vgpr48
                                        ; implicit-def: $vgpr22
                                        ; implicit-def: $vgpr18
	s_and_saveexec_b64 s[0:1], vcc
	s_cbranch_execz .LBB0_5
; %bb.4:
	ds_read2_b64 v[4:7], v142 offset0:13 offset1:34
	ds_read2_b64 v[16:19], v142 offset0:55 offset1:76
	;; [unrolled: 1-line block ×6, first 2 shown]
	ds_read_b64 v[48:49], v142 offset:2120
.LBB0_5:
	s_or_b64 exec, exec, s[0:1]
	s_waitcnt lgkmcnt(0)
	v_add_f32_e32 v50, v44, v46
	v_add_f32_e32 v51, v45, v47
	;; [unrolled: 1-line block ×23, first 2 shown]
	v_sub_f32_e32 v46, v46, v52
	v_sub_f32_e32 v47, v47, v53
	v_add_f32_e32 v51, v51, v43
	v_add_f32_e32 v50, v50, v52
	v_mul_f32_e32 v52, 0xbeedf032, v47
	s_mov_b32 s4, 0x3f62ad3f
	v_mul_f32_e32 v56, 0xbeedf032, v46
	v_mul_f32_e32 v58, 0xbf52af12, v47
	s_mov_b32 s5, 0x3f116cb1
	v_mul_f32_e32 v60, 0xbf52af12, v46
	;; [unrolled: 3-line block ×6, first 2 shown]
	v_add_f32_e32 v51, v51, v53
	v_fma_f32 v53, v54, s4, -v52
	v_mov_b32_e32 v57, v56
	v_fmac_f32_e32 v52, 0x3f62ad3f, v54
	v_fma_f32 v59, v54, s5, -v58
	v_mov_b32_e32 v61, v60
	v_fmac_f32_e32 v58, 0x3f116cb1, v54
	;; [unrolled: 3-line block ×6, first 2 shown]
	v_add_f32_e32 v53, v44, v53
	v_fmac_f32_e32 v57, 0x3f62ad3f, v55
	v_add_f32_e32 v52, v44, v52
	v_fma_f32 v56, v55, s4, -v56
	v_add_f32_e32 v59, v44, v59
	v_fmac_f32_e32 v61, 0x3f116cb1, v55
	v_add_f32_e32 v58, v44, v58
	v_fma_f32 v60, v55, s5, -v60
	v_add_f32_e32 v63, v44, v63
	v_fmac_f32_e32 v65, 0x3df6dbef, v55
	v_add_f32_e32 v62, v44, v62
	v_fma_f32 v64, v55, s12, -v64
	v_add_f32_e32 v67, v44, v67
	v_fmac_f32_e32 v69, 0xbeb58ec6, v55
	v_add_f32_e32 v66, v44, v66
	v_fma_f32 v68, v55, s13, -v68
	v_add_f32_e32 v71, v44, v71
	v_fmac_f32_e32 v73, 0xbf3f9e67, v55
	v_add_f32_e32 v70, v44, v70
	v_fma_f32 v72, v55, s16, -v72
	v_add_f32_e32 v74, v44, v74
	v_fmac_f32_e32 v75, 0xbf788fa5, v55
	v_add_f32_e32 v44, v44, v47
	v_fma_f32 v46, v55, s17, -v46
	v_add_f32_e32 v47, v43, v37
	v_sub_f32_e32 v37, v37, v43
	v_add_f32_e32 v57, v45, v57
	v_add_f32_e32 v56, v45, v56
	;; [unrolled: 1-line block ×13, first 2 shown]
	v_sub_f32_e32 v36, v36, v42
	v_mul_f32_e32 v42, 0xbf52af12, v37
	v_fma_f32 v43, v46, s5, -v42
	v_add_f32_e32 v43, v43, v53
	v_mul_f32_e32 v53, 0xbf52af12, v36
	v_fmac_f32_e32 v42, 0x3f116cb1, v46
	v_mov_b32_e32 v54, v53
	v_add_f32_e32 v42, v42, v52
	v_fma_f32 v52, v47, s5, -v53
	v_mul_f32_e32 v53, 0xbf6f5d39, v37
	v_fmac_f32_e32 v54, 0x3f116cb1, v47
	v_add_f32_e32 v52, v52, v56
	v_fma_f32 v55, v46, s13, -v53
	v_mul_f32_e32 v56, 0xbf6f5d39, v36
	v_fmac_f32_e32 v53, 0xbeb58ec6, v46
	v_add_f32_e32 v54, v54, v57
	v_mov_b32_e32 v57, v56
	v_add_f32_e32 v53, v53, v58
	v_fma_f32 v56, v47, s13, -v56
	v_mul_f32_e32 v58, 0xbe750f2a, v37
	v_add_f32_e32 v55, v55, v59
	v_fmac_f32_e32 v57, 0xbeb58ec6, v47
	v_add_f32_e32 v56, v56, v60
	v_fma_f32 v59, v46, s17, -v58
	v_mul_f32_e32 v60, 0xbe750f2a, v36
	v_fmac_f32_e32 v58, 0xbf788fa5, v46
	v_add_f32_e32 v57, v57, v61
	v_mov_b32_e32 v61, v60
	v_add_f32_e32 v58, v58, v62
	v_fma_f32 v60, v47, s17, -v60
	v_mul_f32_e32 v62, 0x3f29c268, v37
	v_add_f32_e32 v59, v59, v63
	;; [unrolled: 11-line block ×3, first 2 shown]
	v_add_f32_e32 v64, v64, v68
	v_fma_f32 v67, v46, s12, -v66
	v_mul_f32_e32 v68, 0x3f7e222b, v36
	v_mul_f32_e32 v36, 0x3eedf032, v36
	v_add_f32_e32 v67, v67, v71
	v_fmac_f32_e32 v66, 0x3df6dbef, v46
	v_mul_f32_e32 v37, 0x3eedf032, v37
	v_mov_b32_e32 v71, v36
	v_fma_f32 v36, v47, s4, -v36
	v_add_f32_e32 v66, v66, v70
	v_fma_f32 v70, v46, s4, -v37
	v_fmac_f32_e32 v37, 0x3f62ad3f, v46
	v_add_f32_e32 v36, v36, v45
	v_add_f32_e32 v45, v41, v39
	v_sub_f32_e32 v39, v39, v41
	v_add_f32_e32 v37, v37, v44
	v_add_f32_e32 v44, v40, v38
	v_sub_f32_e32 v38, v38, v40
	v_mul_f32_e32 v40, 0xbf7e222b, v39
	v_fma_f32 v41, v44, s12, -v40
	v_fmac_f32_e32 v65, 0xbf3f9e67, v47
	v_add_f32_e32 v41, v41, v43
	v_mul_f32_e32 v43, 0xbf7e222b, v38
	v_fmac_f32_e32 v40, 0x3df6dbef, v44
	v_add_f32_e32 v65, v65, v69
	v_mov_b32_e32 v69, v68
	v_mov_b32_e32 v46, v43
	v_add_f32_e32 v40, v40, v42
	v_fma_f32 v42, v45, s12, -v43
	v_mul_f32_e32 v43, 0xbe750f2a, v39
	v_fmac_f32_e32 v69, 0x3df6dbef, v47
	v_fma_f32 v68, v47, s12, -v68
	v_fmac_f32_e32 v71, 0x3f62ad3f, v47
	v_fma_f32 v47, v44, s17, -v43
	v_fmac_f32_e32 v43, 0xbf788fa5, v44
	v_fmac_f32_e32 v46, 0x3df6dbef, v45
	v_add_f32_e32 v42, v42, v52
	v_mul_f32_e32 v52, 0xbe750f2a, v38
	v_add_f32_e32 v43, v43, v53
	v_mul_f32_e32 v53, 0x3f6f5d39, v39
	v_add_f32_e32 v46, v46, v54
	v_add_f32_e32 v47, v47, v55
	v_mov_b32_e32 v54, v52
	v_fma_f32 v52, v45, s17, -v52
	v_fma_f32 v55, v44, s13, -v53
	v_fmac_f32_e32 v53, 0xbeb58ec6, v44
	v_fmac_f32_e32 v54, 0xbf788fa5, v45
	v_add_f32_e32 v52, v52, v56
	v_mul_f32_e32 v56, 0x3f6f5d39, v38
	v_add_f32_e32 v53, v53, v58
	v_mul_f32_e32 v58, 0x3eedf032, v39
	v_add_f32_e32 v54, v54, v57
	v_add_f32_e32 v55, v55, v59
	v_mov_b32_e32 v57, v56
	v_fma_f32 v56, v45, s13, -v56
	;; [unrolled: 11-line block ×3, first 2 shown]
	v_fma_f32 v63, v44, s5, -v62
	v_fmac_f32_e32 v62, 0x3f116cb1, v44
	v_mul_f32_e32 v39, 0xbf29c268, v39
	v_add_f32_e32 v60, v60, v64
	v_mul_f32_e32 v64, 0xbf52af12, v38
	v_add_f32_e32 v62, v62, v66
	v_fma_f32 v66, v44, s16, -v39
	v_mul_f32_e32 v38, 0xbf29c268, v38
	v_fmac_f32_e32 v39, 0xbf3f9e67, v44
	v_add_f32_e32 v63, v63, v67
	v_mov_b32_e32 v67, v38
	v_add_f32_e32 v37, v39, v37
	v_fma_f32 v38, v45, s16, -v38
	v_add_f32_e32 v39, v35, v29
	v_sub_f32_e32 v29, v29, v35
	v_add_f32_e32 v36, v38, v36
	v_add_f32_e32 v38, v34, v28
	v_sub_f32_e32 v28, v28, v34
	v_mul_f32_e32 v34, 0xbf6f5d39, v29
	v_fma_f32 v35, v38, s13, -v34
	v_fmac_f32_e32 v61, 0x3f62ad3f, v45
	v_add_f32_e32 v35, v35, v41
	v_mul_f32_e32 v41, 0xbf6f5d39, v28
	v_fmac_f32_e32 v34, 0xbeb58ec6, v38
	v_add_f32_e32 v61, v61, v65
	v_mov_b32_e32 v65, v64
	v_mov_b32_e32 v44, v41
	v_add_f32_e32 v34, v34, v40
	v_fma_f32 v40, v39, s13, -v41
	v_mul_f32_e32 v41, 0x3f29c268, v29
	v_fmac_f32_e32 v65, 0x3f116cb1, v45
	v_fma_f32 v64, v45, s5, -v64
	v_fmac_f32_e32 v67, 0xbf3f9e67, v45
	v_fmac_f32_e32 v44, 0xbeb58ec6, v39
	v_add_f32_e32 v40, v40, v42
	v_fma_f32 v42, v38, s16, -v41
	v_mul_f32_e32 v45, 0x3f29c268, v28
	v_fmac_f32_e32 v41, 0xbf3f9e67, v38
	v_add_f32_e32 v44, v44, v46
	v_mov_b32_e32 v46, v45
	v_add_f32_e32 v41, v41, v43
	v_fma_f32 v43, v39, s16, -v45
	v_mul_f32_e32 v45, 0x3eedf032, v29
	v_add_f32_e32 v42, v42, v47
	v_fma_f32 v47, v38, s4, -v45
	v_fmac_f32_e32 v45, 0x3f62ad3f, v38
	v_fmac_f32_e32 v46, 0xbf3f9e67, v39
	v_add_f32_e32 v43, v43, v52
	v_mul_f32_e32 v52, 0x3eedf032, v28
	v_add_f32_e32 v45, v45, v53
	v_mul_f32_e32 v53, 0xbf7e222b, v29
	v_add_f32_e32 v46, v46, v54
	v_add_f32_e32 v47, v47, v55
	v_mov_b32_e32 v54, v52
	v_fma_f32 v52, v39, s4, -v52
	v_fma_f32 v55, v38, s12, -v53
	v_fmac_f32_e32 v53, 0x3df6dbef, v38
	v_fmac_f32_e32 v54, 0x3f62ad3f, v39
	v_add_f32_e32 v52, v52, v56
	v_mul_f32_e32 v56, 0xbf7e222b, v28
	v_add_f32_e32 v53, v53, v58
	v_mul_f32_e32 v58, 0x3e750f2a, v29
	v_add_f32_e32 v54, v54, v57
	v_add_f32_e32 v55, v55, v59
	v_mov_b32_e32 v57, v56
	v_fma_f32 v56, v39, s12, -v56
	v_fma_f32 v59, v38, s17, -v58
	v_fmac_f32_e32 v58, 0xbf788fa5, v38
	v_mul_f32_e32 v29, 0x3f52af12, v29
	v_add_f32_e32 v56, v56, v60
	v_mul_f32_e32 v60, 0x3e750f2a, v28
	v_add_f32_e32 v58, v58, v62
	v_fma_f32 v62, v38, s5, -v29
	v_mul_f32_e32 v28, 0x3f52af12, v28
	v_fmac_f32_e32 v29, 0x3f116cb1, v38
	v_add_f32_e32 v59, v59, v63
	v_mov_b32_e32 v63, v28
	v_add_f32_e32 v29, v29, v37
	v_fma_f32 v28, v39, s5, -v28
	v_add_f32_e32 v37, v33, v31
	v_sub_f32_e32 v31, v31, v33
	v_add_f32_e32 v28, v28, v36
	v_add_f32_e32 v36, v32, v30
	v_sub_f32_e32 v30, v30, v32
	v_mul_f32_e32 v32, 0xbf29c268, v31
	v_fma_f32 v33, v36, s16, -v32
	v_fmac_f32_e32 v57, 0x3df6dbef, v39
	v_add_f32_e32 v33, v33, v35
	v_mul_f32_e32 v35, 0xbf29c268, v30
	v_fmac_f32_e32 v32, 0xbf3f9e67, v36
	v_add_f32_e32 v57, v57, v61
	v_mov_b32_e32 v61, v60
	v_mov_b32_e32 v38, v35
	v_add_f32_e32 v32, v32, v34
	v_fma_f32 v34, v37, s16, -v35
	v_mul_f32_e32 v35, 0x3f7e222b, v31
	v_fmac_f32_e32 v61, 0xbf788fa5, v39
	v_fma_f32 v60, v39, s17, -v60
	v_fmac_f32_e32 v63, 0x3f116cb1, v39
	v_add_f32_e32 v34, v34, v40
	v_fma_f32 v39, v36, s12, -v35
	v_mul_f32_e32 v40, 0x3f7e222b, v30
	v_fmac_f32_e32 v35, 0x3df6dbef, v36
	v_fmac_f32_e32 v38, 0xbf3f9e67, v37
	v_add_f32_e32 v39, v39, v42
	v_mov_b32_e32 v42, v40
	v_add_f32_e32 v35, v35, v41
	v_fma_f32 v40, v37, s12, -v40
	v_mul_f32_e32 v41, 0xbf52af12, v31
	v_add_f32_e32 v38, v38, v44
	v_fmac_f32_e32 v42, 0x3df6dbef, v37
	v_add_f32_e32 v40, v40, v43
	v_fma_f32 v43, v36, s5, -v41
	v_mul_f32_e32 v44, 0xbf52af12, v30
	v_fmac_f32_e32 v41, 0x3f116cb1, v36
	v_add_f32_e32 v42, v42, v46
	v_mov_b32_e32 v46, v44
	v_add_f32_e32 v41, v41, v45
	v_fma_f32 v44, v37, s5, -v44
	v_mul_f32_e32 v45, 0x3e750f2a, v31
	v_add_f32_e32 v43, v43, v47
	v_fmac_f32_e32 v46, 0x3f116cb1, v37
	v_add_f32_e32 v44, v44, v52
	v_fma_f32 v47, v36, s17, -v45
	v_mul_f32_e32 v52, 0x3e750f2a, v30
	v_fmac_f32_e32 v45, 0xbf788fa5, v36
	v_add_f32_e32 v46, v46, v54
	v_mov_b32_e32 v54, v52
	v_add_f32_e32 v45, v45, v53
	v_fma_f32 v52, v37, s17, -v52
	v_mul_f32_e32 v53, 0x3eedf032, v31
	v_add_f32_e32 v47, v47, v55
	v_fmac_f32_e32 v54, 0xbf788fa5, v37
	v_add_f32_e32 v52, v52, v56
	v_fma_f32 v55, v36, s4, -v53
	v_mul_f32_e32 v56, 0x3eedf032, v30
	v_mul_f32_e32 v30, 0xbf6f5d39, v30
	v_add_f32_e32 v54, v54, v57
	v_add_f32_e32 v55, v55, v59
	v_mov_b32_e32 v57, v56
	v_mov_b32_e32 v59, v30
	v_fmac_f32_e32 v57, 0x3f62ad3f, v37
	v_fmac_f32_e32 v53, 0x3f62ad3f, v36
	v_fma_f32 v56, v37, s4, -v56
	v_mul_f32_e32 v31, 0xbf6f5d39, v31
	v_fmac_f32_e32 v59, 0xbeb58ec6, v37
	v_fma_f32 v30, v37, s13, -v30
	v_sub_f32_e32 v37, v1, v3
	v_add_f32_e32 v53, v53, v58
	v_fma_f32 v58, v36, s13, -v31
	v_fmac_f32_e32 v31, 0xbeb58ec6, v36
	v_add_f32_e32 v28, v30, v28
	v_add_f32_e32 v30, v2, v0
	v_sub_f32_e32 v36, v0, v2
	v_mul_f32_e32 v2, 0xbe750f2a, v37
	v_add_f32_e32 v29, v31, v29
	v_add_f32_e32 v31, v3, v1
	v_fma_f32 v0, v30, s17, -v2
	v_mul_f32_e32 v3, 0xbe750f2a, v36
	v_fmac_f32_e32 v2, 0xbf788fa5, v30
	v_add_f32_e32 v156, v2, v32
	v_fma_f32 v2, v31, s17, -v3
	v_mul_f32_e32 v32, 0x3eedf032, v37
	v_add_f32_e32 v0, v0, v33
	v_add_f32_e32 v157, v2, v34
	v_fma_f32 v2, v30, s4, -v32
	v_mul_f32_e32 v33, 0x3eedf032, v36
	v_fmac_f32_e32 v32, 0x3f62ad3f, v30
	v_add_f32_e32 v133, v32, v35
	v_fma_f32 v32, v31, s4, -v33
	v_add_f32_e32 v134, v32, v40
	v_mul_f32_e32 v32, 0xbf29c268, v37
	v_mov_b32_e32 v1, v3
	v_mov_b32_e32 v3, v33
	v_fma_f32 v33, v30, s16, -v32
	v_add_f32_e32 v78, v33, v43
	v_mul_f32_e32 v33, 0xbf29c268, v36
	v_fmac_f32_e32 v32, 0xbf3f9e67, v30
	v_add_f32_e32 v135, v32, v41
	v_fma_f32 v32, v31, s16, -v33
	v_add_f32_e32 v136, v32, v44
	v_mul_f32_e32 v32, 0x3f52af12, v37
	v_mov_b32_e32 v34, v33
	v_fma_f32 v33, v30, s5, -v32
	v_add_f32_e32 v94, v33, v47
	v_mul_f32_e32 v33, 0x3f52af12, v36
	v_fmac_f32_e32 v32, 0x3f116cb1, v30
	v_add_f32_e32 v139, v32, v45
	v_fma_f32 v32, v31, s5, -v33
	v_add_f32_e32 v68, v68, v72
	v_fmac_f32_e32 v34, 0xbf3f9e67, v31
	v_add_f32_e32 v140, v32, v52
	v_mul_f32_e32 v32, 0xbf6f5d39, v37
	v_add_f32_e32 v64, v64, v68
	v_add_f32_e32 v79, v34, v46
	v_mov_b32_e32 v34, v33
	v_fma_f32 v33, v30, s13, -v32
	v_add_f32_e32 v70, v70, v74
	v_add_f32_e32 v60, v60, v64
	;; [unrolled: 1-line block ×3, first 2 shown]
	v_mul_f32_e32 v33, 0xbf6f5d39, v36
	v_fmac_f32_e32 v32, 0xbeb58ec6, v30
	v_add_f32_e32 v71, v71, v75
	v_add_f32_e32 v66, v66, v70
	;; [unrolled: 1-line block ×4, first 2 shown]
	v_fma_f32 v32, v31, s13, -v33
	v_add_f32_e32 v69, v69, v73
	v_add_f32_e32 v67, v67, v71
	;; [unrolled: 1-line block ×3, first 2 shown]
	v_fmac_f32_e32 v34, 0x3f116cb1, v31
	v_add_f32_e32 v147, v32, v56
	v_mul_f32_e32 v32, 0x3f7e222b, v37
	v_add_f32_e32 v65, v65, v69
	v_add_f32_e32 v63, v63, v67
	;; [unrolled: 1-line block ×4, first 2 shown]
	v_mov_b32_e32 v34, v33
	v_fma_f32 v33, v30, s12, -v32
	v_add_f32_e32 v61, v61, v65
	v_add_f32_e32 v59, v59, v63
	;; [unrolled: 1-line block ×3, first 2 shown]
	v_mul_f32_e32 v33, 0x3f7e222b, v36
	v_fmac_f32_e32 v32, 0x3df6dbef, v30
	v_sub_f32_e32 v63, v7, v49
	v_add_f32_e32 v57, v57, v61
	v_fmac_f32_e32 v34, 0xbeb58ec6, v31
	v_add_f32_e32 v100, v32, v29
	v_fma_f32 v29, v31, s12, -v33
	v_mul_f32_e32 v32, 0xbeedf032, v63
	v_add_f32_e32 v97, v34, v57
	v_mov_b32_e32 v34, v33
	v_add_f32_e32 v101, v29, v28
	v_add_f32_e32 v28, v48, v6
	v_sub_f32_e32 v68, v6, v48
	v_mov_b32_e32 v30, v32
	v_fmac_f32_e32 v34, 0x3df6dbef, v31
	v_add_f32_e32 v29, v49, v7
	v_mul_f32_e32 v33, 0xbeedf032, v68
	v_fmac_f32_e32 v30, 0x3f62ad3f, v28
	v_add_f32_e32 v99, v34, v59
	v_add_f32_e32 v34, v30, v4
	v_fma_f32 v30, v29, s4, -v33
	v_mul_f32_e32 v35, 0xbf52af12, v63
	v_fmac_f32_e32 v1, 0xbf788fa5, v31
	v_add_f32_e32 v36, v30, v5
	v_mov_b32_e32 v30, v35
	v_add_f32_e32 v1, v1, v38
	v_mul_f32_e32 v38, 0xbf52af12, v68
	v_fmac_f32_e32 v30, 0x3f116cb1, v28
	v_add_f32_e32 v40, v30, v4
	v_fma_f32 v30, v29, s5, -v38
	v_mul_f32_e32 v41, 0xbf7e222b, v63
	v_add_f32_e32 v43, v30, v5
	v_mov_b32_e32 v30, v41
	v_mul_f32_e32 v45, 0xbf7e222b, v68
	v_fmac_f32_e32 v30, 0x3df6dbef, v28
	v_add_f32_e32 v44, v30, v4
	v_fma_f32 v30, v29, s12, -v45
	v_mul_f32_e32 v53, 0xbf6f5d39, v63
	v_add_f32_e32 v47, v30, v5
	v_mov_b32_e32 v30, v53
	v_mul_f32_e32 v56, 0xbf6f5d39, v68
	v_fmac_f32_e32 v30, 0xbeb58ec6, v28
	v_sub_f32_e32 v72, v17, v27
	v_fmac_f32_e32 v3, 0x3f62ad3f, v31
	v_add_f32_e32 v52, v30, v4
	v_fma_f32 v30, v29, s13, -v56
	v_mul_f32_e32 v37, 0xbf52af12, v72
	v_add_f32_e32 v3, v3, v42
	v_add_f32_e32 v55, v30, v5
	;; [unrolled: 1-line block ×3, first 2 shown]
	v_sub_f32_e32 v76, v16, v26
	v_mov_b32_e32 v42, v37
	v_add_f32_e32 v2, v2, v39
	v_add_f32_e32 v31, v27, v17
	v_mul_f32_e32 v39, 0xbf52af12, v76
	v_fmac_f32_e32 v42, 0x3f116cb1, v30
	v_add_f32_e32 v57, v42, v34
	v_fma_f32 v34, v31, s5, -v39
	v_mul_f32_e32 v42, 0xbf6f5d39, v72
	v_add_f32_e32 v58, v34, v36
	v_mov_b32_e32 v34, v42
	v_mul_f32_e32 v46, 0xbf6f5d39, v76
	v_fmac_f32_e32 v34, 0xbeb58ec6, v30
	v_add_f32_e32 v40, v34, v40
	v_fma_f32 v34, v31, s13, -v46
	v_mul_f32_e32 v54, 0xbe750f2a, v72
	v_add_f32_e32 v43, v34, v43
	v_mov_b32_e32 v34, v54
	;; [unrolled: 7-line block ×3, first 2 shown]
	v_mul_f32_e32 v67, 0x3f29c268, v76
	v_fmac_f32_e32 v34, 0xbf3f9e67, v30
	v_sub_f32_e32 v82, v19, v25
	v_add_f32_e32 v52, v34, v52
	v_fma_f32 v34, v31, s16, -v67
	v_mul_f32_e32 v44, 0xbf7e222b, v82
	v_add_f32_e32 v69, v34, v55
	v_add_f32_e32 v34, v24, v18
	v_sub_f32_e32 v85, v18, v24
	v_mov_b32_e32 v55, v44
	v_add_f32_e32 v36, v25, v19
	v_mul_f32_e32 v47, 0xbf7e222b, v85
	v_fmac_f32_e32 v55, 0x3df6dbef, v34
	v_add_f32_e32 v57, v55, v57
	v_fma_f32 v55, v36, s12, -v47
	v_add_f32_e32 v71, v55, v58
	v_mul_f32_e32 v55, 0xbe750f2a, v82
	v_mov_b32_e32 v58, v55
	v_mul_f32_e32 v60, 0xbe750f2a, v85
	v_fmac_f32_e32 v58, 0xbf788fa5, v34
	v_add_f32_e32 v74, v58, v40
	v_fma_f32 v40, v36, s17, -v60
	v_mul_f32_e32 v65, 0x3f6f5d39, v82
	v_add_f32_e32 v77, v40, v43
	v_mov_b32_e32 v40, v65
	v_mul_f32_e32 v70, 0x3f6f5d39, v85
	v_fmac_f32_e32 v40, 0xbeb58ec6, v34
	v_add_f32_e32 v83, v40, v62
	v_fma_f32 v40, v36, s13, -v70
	v_mul_f32_e32 v73, 0x3eedf032, v82
	v_add_f32_e32 v84, v40, v66
	v_mov_b32_e32 v40, v73
	v_mul_f32_e32 v75, 0x3eedf032, v85
	v_fmac_f32_e32 v40, 0x3f62ad3f, v34
	v_sub_f32_e32 v86, v21, v15
	v_add_f32_e32 v52, v40, v52
	v_fma_f32 v40, v36, s4, -v75
	v_mul_f32_e32 v58, 0xbf6f5d39, v86
	v_add_f32_e32 v69, v40, v69
	v_add_f32_e32 v40, v14, v20
	v_sub_f32_e32 v89, v20, v14
	v_mov_b32_e32 v66, v58
	v_add_f32_e32 v43, v15, v21
	v_mul_f32_e32 v62, 0xbf6f5d39, v89
	v_fmac_f32_e32 v66, 0xbeb58ec6, v40
	v_add_f32_e32 v88, v66, v57
	v_fma_f32 v57, v43, s13, -v62
	v_mul_f32_e32 v66, 0x3f29c268, v86
	v_add_f32_e32 v90, v57, v71
	v_mov_b32_e32 v57, v66
	v_mul_f32_e32 v71, 0x3f29c268, v89
	v_fmac_f32_e32 v57, 0xbf3f9e67, v40
	v_add_f32_e32 v103, v57, v74
	v_fma_f32 v57, v43, s16, -v71
	v_mul_f32_e32 v74, 0x3eedf032, v86
	v_add_f32_e32 v137, v57, v77
	v_mov_b32_e32 v57, v74
	;; [unrolled: 7-line block ×3, first 2 shown]
	v_mul_f32_e32 v84, 0xbf7e222b, v89
	v_fmac_f32_e32 v57, 0x3df6dbef, v40
	v_add_f32_e32 v149, v57, v52
	v_fma_f32 v52, v43, s12, -v84
	v_sub_f32_e32 v92, v23, v13
	v_mul_lo_u16_e32 v87, 13, v141
	v_add_f32_e32 v150, v52, v69
	v_mul_f32_e32 v69, 0xbf29c268, v92
	v_lshl_add_u32 v145, v87, 3, v143
	v_add_f32_e32 v52, v12, v22
	s_waitcnt lgkmcnt(0)
	; wave barrier
	ds_write2_b64 v145, v[50:51], v[0:1] offset1:1
	v_mov_b32_e32 v0, v69
	v_sub_f32_e32 v93, v22, v12
	v_fmac_f32_e32 v0, 0xbf3f9e67, v52
	v_sub_f32_e32 v102, v9, v11
	v_add_f32_e32 v57, v13, v23
	v_mul_f32_e32 v87, 0xbf29c268, v93
	v_add_f32_e32 v0, v0, v88
	v_mul_f32_e32 v88, 0xbe750f2a, v102
	v_fma_f32 v1, v57, s16, -v87
	v_add_f32_e32 v50, v10, v8
	ds_write2_b64 v145, v[2:3], v[78:79] offset0:2 offset1:3
	v_sub_f32_e32 v138, v8, v10
	v_mov_b32_e32 v2, v88
	v_add_f32_e32 v1, v1, v90
	v_add_f32_e32 v51, v11, v9
	v_mul_f32_e32 v90, 0xbe750f2a, v138
	v_fmac_f32_e32 v2, 0xbf788fa5, v50
	v_mul_f32_e32 v91, 0x3f7e222b, v92
	v_add_f32_e32 v2, v2, v0
	v_fma_f32 v0, v51, s17, -v90
	ds_write2_b64 v145, v[94:95], v[96:97] offset0:4 offset1:5
	v_add_f32_e32 v3, v0, v1
	v_mov_b32_e32 v0, v91
	v_mul_f32_e32 v94, 0x3eedf032, v102
	v_mul_f32_e32 v95, 0x3f7e222b, v93
	v_fmac_f32_e32 v0, 0x3df6dbef, v52
	v_mov_b32_e32 v78, v94
	v_add_f32_e32 v0, v0, v103
	v_fma_f32 v1, v57, s12, -v95
	v_mul_f32_e32 v96, 0x3eedf032, v138
	v_fmac_f32_e32 v78, 0x3f62ad3f, v50
	v_add_f32_e32 v1, v1, v137
	v_mul_f32_e32 v97, 0xbf52af12, v92
	v_add_f32_e32 v0, v78, v0
	v_fma_f32 v78, v51, s4, -v96
	ds_write2_b64 v145, v[98:99], v[100:101] offset0:6 offset1:7
	v_add_f32_e32 v1, v78, v1
	v_mov_b32_e32 v78, v97
	v_mul_f32_e32 v98, 0xbf29c268, v102
	v_mul_f32_e32 v99, 0xbf52af12, v93
	v_fmac_f32_e32 v78, 0x3f116cb1, v52
	v_mov_b32_e32 v103, v98
	v_add_f32_e32 v78, v78, v144
	v_fma_f32 v79, v57, s5, -v99
	v_mul_f32_e32 v101, 0x3e750f2a, v92
	v_mul_f32_e32 v100, 0xbf29c268, v138
	v_fmac_f32_e32 v103, 0xbf3f9e67, v50
	v_add_f32_e32 v79, v79, v148
	v_add_f32_e32 v78, v103, v78
	v_fma_f32 v103, v51, s16, -v100
	v_mov_b32_e32 v137, v101
	v_add_f32_e32 v79, v103, v79
	v_mul_f32_e32 v103, 0x3e750f2a, v93
	v_fmac_f32_e32 v137, 0xbf788fa5, v52
	v_mul_f32_e32 v61, 0xbf29c268, v63
	ds_write2_b64 v145, v[146:147], v[139:140] offset0:8 offset1:9
	v_add_f32_e32 v140, v137, v149
	v_fma_f32 v137, v57, s17, -v103
	v_add_f32_e32 v144, v137, v150
	v_mov_b32_e32 v137, v61
	v_fmac_f32_e32 v137, 0xbf3f9e67, v28
	v_add_f32_e32 v146, v137, v4
	v_mul_f32_e32 v137, 0x3f52af12, v102
	ds_write2_b64 v145, v[135:136], v[133:134] offset0:10 offset1:11
	v_mov_b32_e32 v133, v137
	v_fmac_f32_e32 v133, 0x3f116cb1, v50
	v_add_f32_e32 v133, v133, v140
	v_mul_f32_e32 v140, 0x3f7e222b, v72
	v_mul_f32_e32 v139, 0x3f52af12, v138
	v_mov_b32_e32 v135, v140
	v_mul_f32_e32 v148, 0xbf29c268, v68
	v_fma_f32 v134, v51, s5, -v139
	v_fmac_f32_e32 v135, 0x3df6dbef, v30
	v_fma_f32 v136, v29, s16, -v148
	v_mul_f32_e32 v149, 0x3f7e222b, v76
	v_add_f32_e32 v134, v134, v144
	v_add_f32_e32 v135, v135, v146
	;; [unrolled: 1-line block ×3, first 2 shown]
	v_fma_f32 v144, v31, s12, -v149
	v_mul_f32_e32 v146, 0xbf52af12, v82
	v_add_f32_e32 v136, v144, v136
	v_mov_b32_e32 v144, v146
	v_fmac_f32_e32 v144, 0x3f116cb1, v34
	v_mul_f32_e32 v151, 0xbf52af12, v85
	v_add_f32_e32 v135, v144, v135
	v_fma_f32 v144, v36, s5, -v151
	v_mul_f32_e32 v147, 0x3e750f2a, v86
	v_add_f32_e32 v136, v144, v136
	v_mov_b32_e32 v144, v147
	v_fmac_f32_e32 v144, 0xbf788fa5, v40
	v_mul_f32_e32 v153, 0x3e750f2a, v89
	v_add_f32_e32 v135, v144, v135
	;; [unrolled: 7-line block ×4, first 2 shown]
	v_fma_f32 v144, v51, s13, -v155
	v_add_f32_e32 v136, v144, v136
	v_add_co_u32_e64 v144, s[0:1], 13, v141
	v_mul_u32_u24_e32 v144, 13, v144
	ds_write_b64 v145, v[156:157] offset:96
	s_and_saveexec_b64 s[0:1], vcc
	s_cbranch_execz .LBB0_7
; %bb.6:
	v_mul_f32_e32 v216, 0xbe750f2a, v68
	v_mov_b32_e32 v68, v216
	v_mul_f32_e32 v76, 0x3eedf032, v76
	v_fmac_f32_e32 v68, 0xbf788fa5, v29
	v_mov_b32_e32 v217, v76
	v_add_f32_e32 v68, v68, v5
	v_fmac_f32_e32 v217, 0x3f62ad3f, v31
	v_add_f32_e32 v68, v217, v68
	v_mul_f32_e32 v217, 0xbf29c268, v85
	v_mov_b32_e32 v85, v217
	v_fmac_f32_e32 v85, 0xbf3f9e67, v36
	v_mul_f32_e32 v89, 0x3f52af12, v89
	v_add_f32_e32 v68, v85, v68
	v_mov_b32_e32 v85, v89
	v_fmac_f32_e32 v85, 0x3f116cb1, v43
	v_mul_f32_e32 v218, 0xbf6f5d39, v93
	v_add_f32_e32 v68, v85, v68
	;; [unrolled: 4-line block ×3, first 2 shown]
	v_mov_b32_e32 v85, v138
	v_mul_f32_e32 v219, 0xbe750f2a, v63
	v_fmac_f32_e32 v85, 0x3df6dbef, v51
	v_fma_f32 v63, v28, s17, -v219
	v_mul_f32_e32 v72, 0x3eedf032, v72
	v_add_f32_e32 v93, v85, v68
	v_add_f32_e32 v63, v63, v4
	v_fma_f32 v68, v30, s4, -v72
	v_mul_f32_e32 v82, 0xbf29c268, v82
	v_add_f32_e32 v63, v68, v63
	v_fma_f32 v68, v34, s16, -v82
	v_mul_f32_e32 v220, 0x3f52af12, v86
	;; [unrolled: 3-line block ×4, first 2 shown]
	v_mul_f32_e32 v165, 0xbf3f9e67, v29
	v_add_f32_e32 v63, v68, v63
	v_fma_f32 v68, v50, s12, -v102
	v_mul_f32_e32 v175, 0x3df6dbef, v31
	v_add_f32_e32 v92, v68, v63
	v_add_f32_e32 v63, v148, v165
	v_mul_f32_e32 v185, 0x3f116cb1, v36
	v_add_f32_e32 v63, v63, v5
	v_add_f32_e32 v68, v149, v175
	;; [unrolled: 3-line block ×4, first 2 shown]
	v_mul_f32_e32 v164, 0xbf3f9e67, v28
	v_mul_f32_e32 v215, 0xbeb58ec6, v51
	v_add_f32_e32 v63, v68, v63
	v_add_f32_e32 v68, v154, v205
	v_mul_f32_e32 v174, 0x3df6dbef, v30
	v_add_f32_e32 v63, v68, v63
	v_add_f32_e32 v68, v155, v215
	v_sub_f32_e32 v61, v164, v61
	v_mul_f32_e32 v184, 0x3f116cb1, v34
	v_add_f32_e32 v86, v68, v63
	v_add_f32_e32 v61, v61, v4
	v_sub_f32_e32 v63, v174, v140
	v_mul_f32_e32 v194, 0xbf788fa5, v40
	v_add_f32_e32 v61, v63, v61
	v_sub_f32_e32 v63, v184, v146
	v_mul_f32_e32 v204, 0x3f62ad3f, v52
	v_add_f32_e32 v61, v63, v61
	v_sub_f32_e32 v63, v194, v147
	v_mul_f32_e32 v163, 0xbeb58ec6, v29
	v_mul_f32_e32 v214, 0xbeb58ec6, v50
	v_add_f32_e32 v61, v63, v61
	v_sub_f32_e32 v63, v204, v150
	v_mul_f32_e32 v173, 0xbf3f9e67, v31
	v_add_f32_e32 v61, v63, v61
	v_sub_f32_e32 v63, v214, v152
	v_add_f32_e32 v56, v56, v163
	v_mul_f32_e32 v183, 0x3f62ad3f, v36
	v_add_f32_e32 v85, v63, v61
	v_add_f32_e32 v56, v56, v5
	v_add_f32_e32 v61, v67, v173
	v_mul_f32_e32 v193, 0x3df6dbef, v43
	v_add_f32_e32 v56, v61, v56
	v_add_f32_e32 v61, v75, v183
	v_mul_f32_e32 v203, 0xbf788fa5, v57
	v_add_f32_e32 v56, v61, v56
	v_add_f32_e32 v61, v84, v193
	v_mul_f32_e32 v162, 0xbeb58ec6, v28
	v_mul_f32_e32 v213, 0x3f116cb1, v51
	v_add_f32_e32 v56, v61, v56
	v_add_f32_e32 v61, v103, v203
	v_mul_f32_e32 v172, 0xbf3f9e67, v30
	v_add_f32_e32 v56, v61, v56
	v_add_f32_e32 v61, v139, v213
	v_sub_f32_e32 v53, v162, v53
	v_mul_f32_e32 v182, 0x3f62ad3f, v34
	v_add_f32_e32 v68, v61, v56
	v_add_f32_e32 v53, v53, v4
	v_sub_f32_e32 v56, v172, v64
	v_mul_f32_e32 v192, 0x3df6dbef, v40
	v_add_f32_e32 v53, v56, v53
	v_sub_f32_e32 v56, v182, v73
	v_mul_f32_e32 v202, 0xbf788fa5, v52
	v_add_f32_e32 v53, v56, v53
	v_sub_f32_e32 v56, v192, v83
	v_mul_f32_e32 v161, 0x3df6dbef, v29
	v_mul_f32_e32 v212, 0x3f116cb1, v50
	v_add_f32_e32 v53, v56, v53
	v_sub_f32_e32 v56, v202, v101
	v_mul_f32_e32 v171, 0xbf788fa5, v31
	v_add_f32_e32 v53, v56, v53
	v_sub_f32_e32 v56, v212, v137
	v_add_f32_e32 v45, v45, v161
	v_mul_f32_e32 v181, 0xbeb58ec6, v36
	v_add_f32_e32 v67, v56, v53
	v_add_f32_e32 v45, v45, v5
	v_add_f32_e32 v53, v59, v171
	v_mul_f32_e32 v191, 0x3f62ad3f, v43
	v_add_f32_e32 v45, v53, v45
	v_add_f32_e32 v53, v70, v181
	v_mul_f32_e32 v201, 0x3f116cb1, v57
	v_add_f32_e32 v45, v53, v45
	v_add_f32_e32 v53, v77, v191
	;; [unrolled: 36-line block ×3, first 2 shown]
	v_mul_f32_e32 v158, 0x3f116cb1, v28
	v_mul_f32_e32 v209, 0x3f62ad3f, v51
	v_add_f32_e32 v38, v41, v38
	v_add_f32_e32 v41, v95, v199
	v_mul_f32_e32 v168, 0xbeb58ec6, v30
	v_add_f32_e32 v38, v41, v38
	v_add_f32_e32 v41, v96, v209
	v_sub_f32_e32 v35, v158, v35
	v_mul_f32_e32 v178, 0xbf788fa5, v34
	v_add_f32_e32 v46, v41, v38
	v_add_f32_e32 v35, v35, v4
	v_sub_f32_e32 v38, v168, v42
	v_mul_f32_e32 v188, 0xbf3f9e67, v40
	v_add_f32_e32 v35, v38, v35
	v_sub_f32_e32 v38, v178, v55
	v_mul_f32_e32 v198, 0x3df6dbef, v52
	v_add_f32_e32 v35, v38, v35
	v_sub_f32_e32 v38, v188, v66
	v_mul_f32_e32 v157, 0x3f62ad3f, v29
	v_mul_f32_e32 v208, 0x3f62ad3f, v50
	v_add_f32_e32 v35, v38, v35
	v_sub_f32_e32 v38, v198, v91
	v_mul_f32_e32 v167, 0x3f116cb1, v31
	v_add_f32_e32 v35, v38, v35
	v_sub_f32_e32 v38, v208, v94
	v_add_f32_e32 v33, v33, v157
	v_add_f32_e32 v7, v7, v5
	;; [unrolled: 1-line block ×3, first 2 shown]
	v_mul_f32_e32 v177, 0x3df6dbef, v36
	v_add_f32_e32 v45, v38, v35
	v_add_f32_e32 v33, v33, v5
	;; [unrolled: 1-line block ×5, first 2 shown]
	v_mul_f32_e32 v187, 0xbeb58ec6, v43
	v_add_f32_e32 v33, v35, v33
	v_add_f32_e32 v35, v47, v177
	;; [unrolled: 1-line block ×4, first 2 shown]
	v_mul_f32_e32 v197, 0xbf3f9e67, v57
	v_add_f32_e32 v33, v35, v33
	v_add_f32_e32 v35, v62, v187
	v_add_f32_e32 v7, v21, v7
	v_add_f32_e32 v6, v20, v6
	v_mul_f32_e32 v156, 0x3f62ad3f, v28
	v_mul_f32_e32 v207, 0xbf788fa5, v51
	v_add_f32_e32 v33, v35, v33
	v_add_f32_e32 v35, v87, v197
	;; [unrolled: 1-line block ×4, first 2 shown]
	v_mul_f32_e32 v166, 0x3f116cb1, v30
	v_add_f32_e32 v33, v35, v33
	v_add_f32_e32 v35, v90, v207
	v_sub_f32_e32 v32, v156, v32
	v_add_f32_e32 v7, v9, v7
	v_add_f32_e32 v6, v8, v6
	v_fma_f32 v8, v29, s17, -v216
	v_mul_f32_e32 v176, 0x3df6dbef, v34
	v_add_f32_e32 v33, v35, v33
	v_add_f32_e32 v32, v32, v4
	v_sub_f32_e32 v35, v166, v37
	v_add_f32_e32 v7, v11, v7
	v_add_f32_e32 v6, v10, v6
	;; [unrolled: 1-line block ×3, first 2 shown]
	v_fma_f32 v8, v31, s4, -v76
	v_fmac_f32_e32 v219, 0xbf788fa5, v28
	v_mul_f32_e32 v186, 0xbeb58ec6, v40
	v_add_f32_e32 v32, v35, v32
	v_sub_f32_e32 v35, v176, v44
	v_add_f32_e32 v7, v13, v7
	v_add_f32_e32 v6, v12, v6
	v_add_f32_e32 v5, v8, v5
	v_fma_f32 v8, v36, s16, -v217
	v_add_f32_e32 v4, v219, v4
	v_fmac_f32_e32 v72, 0x3f62ad3f, v30
	v_mul_f32_e32 v196, 0xbf3f9e67, v52
	v_add_f32_e32 v32, v35, v32
	v_sub_f32_e32 v35, v186, v58
	v_add_f32_e32 v7, v15, v7
	v_add_f32_e32 v6, v14, v6
	v_add_f32_e32 v5, v8, v5
	v_fma_f32 v8, v43, s5, -v89
	v_add_f32_e32 v4, v72, v4
	;; [unrolled: 9-line block ×3, first 2 shown]
	v_fmac_f32_e32 v220, 0x3f116cb1, v40
	v_add_f32_e32 v32, v35, v32
	v_sub_f32_e32 v35, v206, v88
	v_add_f32_e32 v7, v27, v7
	v_add_f32_e32 v6, v26, v6
	;; [unrolled: 1-line block ×3, first 2 shown]
	v_fma_f32 v8, v51, s12, -v138
	v_add_f32_e32 v4, v220, v4
	v_fmac_f32_e32 v221, 0xbeb58ec6, v52
	v_add_f32_e32 v32, v35, v32
	v_add_f32_e32 v7, v49, v7
	;; [unrolled: 1-line block ×5, first 2 shown]
	v_fmac_f32_e32 v102, 0x3df6dbef, v50
	v_lshl_add_u32 v8, v144, 3, v143
	v_add_f32_e32 v4, v102, v4
	ds_write2_b64 v8, v[6:7], v[32:33] offset1:1
	ds_write2_b64 v8, v[45:46], v[63:64] offset0:2 offset1:3
	ds_write2_b64 v8, v[67:68], v[85:86] offset0:4 offset1:5
	;; [unrolled: 1-line block ×5, first 2 shown]
	ds_write_b64 v8, v[2:3] offset:96
.LBB0_7:
	s_or_b64 exec, exec, s[0:1]
	s_movk_i32 s0, 0x4f
	v_add_u16_e32 v12, 39, v141
	v_add_u16_e32 v16, 52, v141
	v_mul_lo_u16_sdwa v13, v12, s0 dst_sel:DWORD dst_unused:UNUSED_PAD src0_sel:BYTE_0 src1_sel:DWORD
	v_mul_lo_u16_sdwa v19, v16, s0 dst_sel:DWORD dst_unused:UNUSED_PAD src0_sel:BYTE_0 src1_sel:DWORD
	v_lshrrev_b16_e32 v13, 10, v13
	v_lshrrev_b16_e32 v19, 10, v19
	v_mul_lo_u16_e32 v13, 13, v13
	v_mul_lo_u16_e32 v19, 13, v19
	v_sub_u16_e32 v71, v12, v13
	v_sub_u16_e32 v72, v16, v19
	v_lshlrev_b16_e32 v12, 1, v71
	v_lshlrev_b16_e32 v16, 1, v72
	v_and_b32_e32 v12, 0xfe, v12
	v_and_b32_e32 v16, 0xfe, v16
	v_lshlrev_b32_e32 v12, 3, v12
	v_add_u16_e32 v17, 0x41, v141
	v_lshlrev_b32_e32 v16, 3, v16
	s_waitcnt lgkmcnt(0)
	; wave barrier
	s_waitcnt lgkmcnt(0)
	global_load_dwordx4 v[12:15], v12, s[2:3]
	v_add_u16_e32 v8, 26, v141
	global_load_dwordx4 v[24:27], v16, s[2:3]
	v_mul_lo_u16_sdwa v16, v17, s0 dst_sel:DWORD dst_unused:UNUSED_PAD src0_sel:BYTE_0 src1_sel:DWORD
	v_lshrrev_b16_e32 v16, 10, v16
	v_mul_lo_u16_sdwa v9, v8, s0 dst_sel:DWORD dst_unused:UNUSED_PAD src0_sel:BYTE_0 src1_sel:DWORD
	v_mul_lo_u16_e32 v16, 13, v16
	v_lshrrev_b16_e32 v9, 10, v9
	v_sub_u16_e32 v73, v17, v16
	v_mul_lo_u16_e32 v9, 13, v9
	v_lshlrev_b16_e32 v16, 1, v73
	v_sub_u16_e32 v70, v8, v9
	v_and_b32_e32 v16, 0xfe, v16
	v_lshlrev_b16_e32 v8, 1, v70
	v_add_u16_e32 v18, 0x4e, v141
	v_lshlrev_b32_e32 v16, 3, v16
	v_lshlrev_b32_e32 v4, 4, v141
	v_and_b32_e32 v8, 0xfe, v8
	global_load_dwordx4 v[20:23], v16, s[2:3]
	v_mul_lo_u16_sdwa v16, v18, s0 dst_sel:DWORD dst_unused:UNUSED_PAD src0_sel:BYTE_0 src1_sel:DWORD
	global_load_dwordx4 v[4:7], v4, s[2:3]
	v_lshlrev_b32_e32 v8, 3, v8
	global_load_dwordx4 v[8:11], v8, s[2:3]
	v_lshrrev_b16_e32 v16, 10, v16
	v_mul_lo_u16_e32 v16, 13, v16
	v_sub_u16_e32 v74, v18, v16
	v_lshlrev_b16_e32 v16, 1, v74
	v_and_b32_e32 v16, 0xfe, v16
	v_lshlrev_b32_e32 v16, 3, v16
	global_load_dwordx4 v[16:19], v16, s[2:3]
	ds_read2_b64 v[28:31], v142 offset1:13
	ds_read2_b64 v[32:35], v142 offset0:78 offset1:91
	ds_read2_b64 v[36:39], v142 offset0:182 offset1:195
	;; [unrolled: 1-line block ×9, first 2 shown]
	ds_read_b64 v[68:69], v142 offset:2080
	s_waitcnt lgkmcnt(0)
	; wave barrier
	s_waitcnt vmcnt(5) lgkmcnt(0)
	v_mul_f32_e32 v88, v52, v13
	v_fmac_f32_e32 v88, v53, v12
	v_mul_f32_e32 v92, v50, v15
	v_fmac_f32_e32 v92, v51, v14
	s_waitcnt vmcnt(4)
	v_mul_f32_e32 v94, v54, v25
	v_fmac_f32_e32 v94, v55, v24
	v_mul_f32_e32 v96, v60, v27
	v_fmac_f32_e32 v96, v61, v26
	s_waitcnt vmcnt(3)
	v_mul_f32_e32 v98, v64, v21
	v_fmac_f32_e32 v98, v65, v20
	s_waitcnt vmcnt(2)
	v_mul_f32_e32 v75, v35, v5
	v_mul_f32_e32 v76, v34, v5
	v_fma_f32 v75, v34, v4, -v75
	s_waitcnt vmcnt(1)
	v_mul_f32_e32 v34, v43, v9
	v_fma_f32 v89, v42, v8, -v34
	v_mul_f32_e32 v34, v55, v25
	v_fma_f32 v93, v54, v24, -v34
	;; [unrolled: 2-line block ×3, first 2 shown]
	v_mul_f32_e32 v34, v65, v21
	v_mul_f32_e32 v77, v37, v7
	v_fma_f32 v97, v64, v20, -v34
	v_mul_f32_e32 v34, v63, v23
	v_fmac_f32_e32 v76, v35, v4
	v_fma_f32 v77, v36, v6, -v77
	v_mul_f32_e32 v35, v49, v11
	v_fma_f32 v65, v62, v22, -v34
	s_waitcnt vmcnt(0)
	v_mul_f32_e32 v34, v67, v17
	v_mul_f32_e32 v82, v36, v7
	v_fma_f32 v90, v48, v10, -v35
	v_fma_f32 v100, v66, v16, -v34
	v_mul_f32_e32 v34, v69, v19
	v_add_f32_e32 v35, v75, v77
	v_fmac_f32_e32 v82, v37, v6
	v_mul_f32_e32 v36, v53, v13
	v_mul_f32_e32 v37, v51, v15
	v_fma_f32 v102, v68, v18, -v34
	v_add_f32_e32 v34, v28, v75
	v_fma_f32 v28, -0.5, v35, v28
	v_mul_f32_e32 v83, v41, v5
	v_mul_f32_e32 v84, v40, v5
	;; [unrolled: 1-line block ×3, first 2 shown]
	v_fma_f32 v91, v52, v12, -v36
	v_fma_f32 v53, v50, v14, -v37
	v_sub_f32_e32 v35, v76, v82
	v_mov_b32_e32 v36, v28
	v_add_f32_e32 v37, v76, v82
	v_mul_f32_e32 v86, v38, v7
	v_fma_f32 v83, v40, v4, -v83
	v_fmac_f32_e32 v84, v41, v4
	v_fma_f32 v41, v38, v6, -v85
	v_fmac_f32_e32 v36, 0x3f5db3d7, v35
	v_fmac_f32_e32 v28, 0xbf5db3d7, v35
	v_add_f32_e32 v35, v29, v76
	v_fma_f32 v29, -0.5, v37, v29
	v_fmac_f32_e32 v86, v39, v6
	v_sub_f32_e32 v38, v75, v77
	v_mov_b32_e32 v37, v29
	v_add_f32_e32 v39, v83, v41
	v_fmac_f32_e32 v37, 0xbf5db3d7, v38
	v_fmac_f32_e32 v29, 0x3f5db3d7, v38
	v_add_f32_e32 v38, v30, v83
	v_fma_f32 v30, -0.5, v39, v30
	v_mul_f32_e32 v85, v42, v9
	v_sub_f32_e32 v39, v84, v86
	v_mov_b32_e32 v40, v30
	v_add_f32_e32 v42, v84, v86
	v_fmac_f32_e32 v40, 0x3f5db3d7, v39
	v_fmac_f32_e32 v30, 0xbf5db3d7, v39
	v_add_f32_e32 v39, v31, v84
	v_fmac_f32_e32 v31, -0.5, v42
	v_mul_f32_e32 v87, v48, v11
	v_fmac_f32_e32 v85, v43, v8
	v_add_f32_e32 v38, v38, v41
	v_sub_f32_e32 v42, v83, v41
	v_mov_b32_e32 v41, v31
	v_add_f32_e32 v43, v89, v90
	v_fmac_f32_e32 v87, v49, v10
	v_fmac_f32_e32 v41, 0xbf5db3d7, v42
	;; [unrolled: 1-line block ×3, first 2 shown]
	v_add_f32_e32 v42, v44, v89
	v_fma_f32 v44, -0.5, v43, v44
	v_sub_f32_e32 v43, v85, v87
	v_mov_b32_e32 v48, v44
	v_add_f32_e32 v49, v85, v87
	v_fmac_f32_e32 v48, 0x3f5db3d7, v43
	v_fmac_f32_e32 v44, 0xbf5db3d7, v43
	v_add_f32_e32 v43, v45, v85
	v_fma_f32 v45, -0.5, v49, v45
	v_sub_f32_e32 v50, v89, v90
	v_mov_b32_e32 v49, v45
	v_add_f32_e32 v51, v91, v53
	v_fmac_f32_e32 v49, 0xbf5db3d7, v50
	v_fmac_f32_e32 v45, 0x3f5db3d7, v50
	;; [unrolled: 7-line block ×3, first 2 shown]
	v_add_f32_e32 v51, v47, v88
	v_fmac_f32_e32 v47, -0.5, v54
	v_add_f32_e32 v50, v50, v53
	v_sub_f32_e32 v54, v91, v53
	v_mov_b32_e32 v53, v47
	v_add_f32_e32 v55, v93, v95
	v_fmac_f32_e32 v53, 0xbf5db3d7, v54
	v_fmac_f32_e32 v47, 0x3f5db3d7, v54
	v_add_f32_e32 v54, v56, v93
	v_fma_f32 v56, -0.5, v55, v56
	v_sub_f32_e32 v55, v94, v96
	v_mov_b32_e32 v60, v56
	v_add_f32_e32 v61, v94, v96
	v_mul_f32_e32 v99, v62, v23
	v_fmac_f32_e32 v60, 0x3f5db3d7, v55
	v_fmac_f32_e32 v56, 0xbf5db3d7, v55
	v_add_f32_e32 v55, v57, v94
	v_fma_f32 v57, -0.5, v61, v57
	v_fmac_f32_e32 v99, v63, v22
	v_add_f32_e32 v34, v34, v77
	v_add_f32_e32 v35, v35, v82
	v_sub_f32_e32 v62, v93, v95
	v_mov_b32_e32 v61, v57
	v_add_f32_e32 v63, v97, v65
	v_add_f32_e32 v39, v39, v86
	v_fmac_f32_e32 v61, 0xbf5db3d7, v62
	v_fmac_f32_e32 v57, 0x3f5db3d7, v62
	v_add_f32_e32 v62, v58, v97
	v_fma_f32 v58, -0.5, v63, v58
	ds_write2_b64 v142, v[34:35], v[36:37] offset1:13
	ds_write2_b64 v142, v[28:29], v[38:39] offset0:26 offset1:39
	ds_write2_b64 v142, v[40:41], v[30:31] offset0:52 offset1:65
	v_and_b32_e32 v28, 0xff, v70
	v_mul_f32_e32 v101, v66, v17
	v_sub_f32_e32 v63, v98, v99
	v_mov_b32_e32 v64, v58
	v_add_f32_e32 v66, v98, v99
	v_lshl_add_u32 v146, v28, 3, v143
	v_and_b32_e32 v28, 0xff, v71
	v_fmac_f32_e32 v64, 0x3f5db3d7, v63
	v_fmac_f32_e32 v58, 0xbf5db3d7, v63
	v_add_f32_e32 v63, v59, v98
	v_fmac_f32_e32 v59, -0.5, v66
	v_lshl_add_u32 v147, v28, 3, v143
	v_and_b32_e32 v28, 0xff, v72
	v_fmac_f32_e32 v101, v67, v16
	v_mul_f32_e32 v103, v68, v19
	v_add_f32_e32 v62, v62, v65
	v_sub_f32_e32 v66, v97, v65
	v_mov_b32_e32 v65, v59
	v_add_f32_e32 v67, v100, v102
	v_lshl_add_u32 v148, v28, 3, v143
	v_and_b32_e32 v28, 0xff, v73
	v_fmac_f32_e32 v103, v69, v18
	v_add_f32_e32 v42, v42, v90
	v_add_f32_e32 v43, v43, v87
	;; [unrolled: 1-line block ×6, first 2 shown]
	v_fmac_f32_e32 v65, 0xbf5db3d7, v66
	v_fmac_f32_e32 v59, 0x3f5db3d7, v66
	v_add_f32_e32 v66, v32, v100
	v_fma_f32 v32, -0.5, v67, v32
	v_lshl_add_u32 v149, v28, 3, v143
	v_sub_f32_e32 v67, v101, v103
	v_mov_b32_e32 v68, v32
	v_add_f32_e32 v69, v101, v103
	ds_write2_b64 v146, v[42:43], v[48:49] offset0:78 offset1:91
	ds_write_b64 v146, v[44:45] offset:832
	ds_write2_b64 v147, v[50:51], v[52:53] offset0:117 offset1:130
	ds_write_b64 v147, v[46:47] offset:1144
	;; [unrolled: 2-line block ×4, first 2 shown]
	v_mad_u64_u32 v[64:65], s[0:1], v141, 48, s[2:3]
	v_fmac_f32_e32 v68, 0x3f5db3d7, v67
	v_fmac_f32_e32 v32, 0xbf5db3d7, v67
	v_add_f32_e32 v67, v33, v101
	v_fmac_f32_e32 v33, -0.5, v69
	v_sub_f32_e32 v75, v100, v102
	v_mov_b32_e32 v69, v33
	v_and_b32_e32 v28, 0xff, v74
	v_add_f32_e32 v66, v66, v102
	v_add_f32_e32 v67, v67, v103
	v_fmac_f32_e32 v69, 0xbf5db3d7, v75
	v_fmac_f32_e32 v33, 0x3f5db3d7, v75
	v_lshl_add_u32 v150, v28, 3, v143
	ds_write2_b64 v150, v[66:67], v[68:69] offset0:234 offset1:247
	ds_write_b64 v150, v[32:33] offset:2080
	s_waitcnt lgkmcnt(0)
	; wave barrier
	s_waitcnt lgkmcnt(0)
	global_load_dwordx4 v[48:51], v[64:65], off offset:208
	global_load_dwordx4 v[36:39], v[64:65], off offset:224
	;; [unrolled: 1-line block ×9, first 2 shown]
	ds_read2_b64 v[64:67], v142 offset1:13
	ds_read2_b64 v[68:71], v142 offset0:26 offset1:39
	ds_read2_b64 v[72:75], v142 offset0:78 offset1:91
	;; [unrolled: 1-line block ×9, first 2 shown]
	ds_read_b64 v[76:77], v142 offset:2080
	s_mov_b32 s0, 0x3f5ff5aa
	s_mov_b32 s1, 0x3f3bfb3b
	;; [unrolled: 1-line block ×4, first 2 shown]
	s_waitcnt vmcnt(8) lgkmcnt(9)
	v_mul_f32_e32 v102, v71, v49
	v_fma_f32 v102, v70, v48, -v102
	v_mul_f32_e32 v70, v70, v49
	v_fmac_f32_e32 v70, v71, v48
	s_waitcnt lgkmcnt(8)
	v_mul_f32_e32 v71, v73, v51
	v_fma_f32 v71, v72, v50, -v71
	v_mul_f32_e32 v72, v72, v51
	v_fmac_f32_e32 v72, v73, v50
	s_waitcnt vmcnt(7) lgkmcnt(7)
	v_mul_f32_e32 v73, v85, v37
	v_fma_f32 v73, v84, v36, -v73
	v_mul_f32_e32 v84, v84, v37
	v_fmac_f32_e32 v84, v85, v36
	s_waitcnt lgkmcnt(6)
	v_mul_f32_e32 v85, v87, v39
	v_fma_f32 v85, v86, v38, -v85
	v_mul_f32_e32 v86, v86, v39
	v_fmac_f32_e32 v86, v87, v38
	;; [unrolled: 10-line block ×3, first 2 shown]
	s_waitcnt vmcnt(5) lgkmcnt(3)
	v_mul_f32_e32 v95, v99, v57
	v_fma_f32 v103, v98, v56, -v95
	v_mul_f32_e32 v98, v98, v57
	v_mul_f32_e32 v95, v75, v59
	v_fmac_f32_e32 v98, v99, v56
	v_fma_f32 v99, v74, v58, -v95
	v_mul_f32_e32 v74, v74, v59
	v_fmac_f32_e32 v74, v75, v58
	s_waitcnt vmcnt(4) lgkmcnt(2)
	v_mul_f32_e32 v75, v138, v45
	v_fma_f32 v75, v137, v44, -v75
	v_mul_f32_e32 v137, v137, v45
	v_mul_f32_e32 v95, v89, v47
	v_fmac_f32_e32 v137, v138, v44
	v_fma_f32 v138, v88, v46, -v95
	v_mul_f32_e32 v155, v88, v47
	s_waitcnt vmcnt(3) lgkmcnt(1)
	v_mul_f32_e32 v88, v152, v33
	v_fma_f32 v156, v151, v32, -v88
	v_mul_f32_e32 v151, v151, v33
	v_mul_f32_e32 v88, v97, v35
	v_fmac_f32_e32 v151, v152, v32
	v_fma_f32 v152, v96, v34, -v88
	s_waitcnt vmcnt(2)
	v_mul_f32_e32 v88, v101, v61
	v_fma_f32 v157, v100, v60, -v88
	v_mul_f32_e32 v88, v83, v63
	v_fma_f32 v159, v82, v62, -v88
	v_mul_f32_e32 v160, v82, v63
	s_waitcnt vmcnt(1)
	v_mul_f32_e32 v82, v140, v53
	v_fma_f32 v161, v139, v52, -v82
	v_mul_f32_e32 v82, v91, v55
	v_fma_f32 v163, v90, v54, -v82
	s_waitcnt vmcnt(0)
	v_mul_f32_e32 v82, v154, v41
	v_fma_f32 v165, v153, v40, -v82
	v_mul_f32_e32 v153, v153, v41
	s_waitcnt lgkmcnt(0)
	v_mul_f32_e32 v82, v77, v43
	v_fmac_f32_e32 v153, v154, v40
	v_fma_f32 v154, v76, v42, -v82
	v_mul_f32_e32 v76, v76, v43
	v_fmac_f32_e32 v76, v77, v42
	v_add_f32_e32 v77, v102, v93
	v_add_f32_e32 v88, v71, v87
	v_fmac_f32_e32 v155, v89, v46
	v_mul_f32_e32 v164, v90, v55
	v_add_f32_e32 v82, v70, v94
	v_add_f32_e32 v89, v72, v92
	v_sub_f32_e32 v71, v71, v87
	v_add_f32_e32 v87, v73, v85
	v_add_f32_e32 v90, v84, v86
	v_sub_f32_e32 v73, v85, v73
	v_add_f32_e32 v85, v88, v77
	v_fmac_f32_e32 v160, v83, v62
	v_sub_f32_e32 v83, v102, v93
	v_sub_f32_e32 v72, v72, v92
	;; [unrolled: 1-line block ×3, first 2 shown]
	v_add_f32_e32 v86, v89, v82
	v_sub_f32_e32 v92, v89, v82
	v_sub_f32_e32 v93, v82, v90
	v_add_f32_e32 v82, v73, v71
	v_add_f32_e32 v85, v87, v85
	v_mul_f32_e32 v96, v96, v35
	v_fmac_f32_e32 v164, v91, v54
	v_sub_f32_e32 v91, v88, v77
	v_sub_f32_e32 v77, v77, v87
	;; [unrolled: 1-line block ×3, first 2 shown]
	v_add_f32_e32 v86, v90, v86
	v_add_f32_e32 v87, v82, v83
	;; [unrolled: 1-line block ×3, first 2 shown]
	v_fmac_f32_e32 v96, v97, v34
	v_mul_f32_e32 v158, v100, v61
	v_sub_f32_e32 v70, v70, v94
	v_sub_f32_e32 v89, v90, v89
	v_add_f32_e32 v94, v84, v72
	v_sub_f32_e32 v95, v73, v71
	v_sub_f32_e32 v97, v84, v72
	;; [unrolled: 1-line block ×4, first 2 shown]
	v_add_f32_e32 v83, v65, v86
	v_mov_b32_e32 v100, v82
	v_sub_f32_e32 v84, v70, v84
	v_sub_f32_e32 v72, v72, v70
	v_add_f32_e32 v70, v94, v70
	v_mul_f32_e32 v64, 0x3f4a47b2, v77
	v_mul_f32_e32 v77, 0x3d64c772, v88
	;; [unrolled: 1-line block ×4, first 2 shown]
	v_fmac_f32_e32 v100, 0xbf955555, v85
	v_mov_b32_e32 v85, v83
	v_mul_f32_e32 v65, 0x3f4a47b2, v93
	v_mul_f32_e32 v95, 0xbf08b237, v95
	;; [unrolled: 1-line block ×4, first 2 shown]
	v_fmac_f32_e32 v85, 0xbf955555, v86
	v_fma_f32 v77, v91, s1, -v77
	v_fma_f32 v86, v92, s1, -v90
	;; [unrolled: 1-line block ×3, first 2 shown]
	v_fmac_f32_e32 v64, 0x3d64c772, v88
	v_fma_f32 v72, v72, s0, -v94
	v_fmac_f32_e32 v94, 0x3eae86e6, v84
	v_fma_f32 v88, v92, s2, -v65
	;; [unrolled: 2-line block ×4, first 2 shown]
	v_fma_f32 v92, v84, s3, -v97
	v_add_f32_e32 v64, v64, v100
	v_add_f32_e32 v77, v77, v100
	v_fmac_f32_e32 v94, 0x3ee1c552, v70
	v_fmac_f32_e32 v72, 0x3ee1c552, v70
	v_add_f32_e32 v65, v65, v85
	v_add_f32_e32 v91, v86, v85
	;; [unrolled: 1-line block ×4, first 2 shown]
	v_fmac_f32_e32 v95, 0x3ee1c552, v87
	v_fmac_f32_e32 v71, 0x3ee1c552, v87
	;; [unrolled: 1-line block ×4, first 2 shown]
	v_add_f32_e32 v84, v94, v64
	v_sub_f32_e32 v88, v77, v72
	v_add_f32_e32 v90, v72, v77
	v_sub_f32_e32 v94, v64, v94
	v_add_f32_e32 v64, v103, v152
	v_add_f32_e32 v72, v99, v156
	v_sub_f32_e32 v85, v65, v95
	v_add_f32_e32 v86, v92, v93
	v_sub_f32_e32 v87, v97, v73
	;; [unrolled: 2-line block ×3, first 2 shown]
	v_sub_f32_e32 v92, v93, v92
	v_add_f32_e32 v93, v73, v97
	v_add_f32_e32 v95, v95, v65
	;; [unrolled: 1-line block ×3, first 2 shown]
	v_sub_f32_e32 v71, v98, v96
	v_add_f32_e32 v73, v74, v151
	v_sub_f32_e32 v77, v99, v156
	v_add_f32_e32 v96, v75, v138
	v_add_f32_e32 v99, v72, v64
	;; [unrolled: 1-line block ×5, first 2 shown]
	v_fmac_f32_e32 v158, v101, v60
	v_mul_f32_e32 v162, v139, v53
	v_sub_f32_e32 v74, v74, v151
	v_sub_f32_e32 v98, v155, v137
	;; [unrolled: 1-line block ×5, first 2 shown]
	v_add_f32_e32 v100, v97, v100
	v_add_f32_e32 v96, v66, v99
	v_fmac_f32_e32 v162, v140, v52
	v_sub_f32_e32 v70, v103, v152
	v_sub_f32_e32 v75, v138, v75
	;; [unrolled: 1-line block ×5, first 2 shown]
	v_add_f32_e32 v137, v98, v74
	v_sub_f32_e32 v139, v98, v74
	v_add_f32_e32 v97, v67, v100
	v_mov_b32_e32 v140, v96
	v_add_f32_e32 v103, v75, v77
	v_sub_f32_e32 v138, v75, v77
	v_sub_f32_e32 v98, v71, v98
	;; [unrolled: 1-line block ×4, first 2 shown]
	v_add_f32_e32 v71, v137, v71
	v_mul_f32_e32 v64, 0x3f4a47b2, v64
	v_mul_f32_e32 v137, 0xbf08b237, v139
	v_fmac_f32_e32 v140, 0xbf955555, v99
	v_mov_b32_e32 v99, v97
	v_sub_f32_e32 v75, v70, v75
	v_add_f32_e32 v70, v103, v70
	v_mul_f32_e32 v65, 0x3f4a47b2, v65
	v_mul_f32_e32 v66, 0x3d64c772, v72
	;; [unrolled: 1-line block ×6, first 2 shown]
	v_fmac_f32_e32 v99, 0xbf955555, v100
	v_fma_f32 v100, v101, s2, -v64
	v_fmac_f32_e32 v64, 0x3d64c772, v72
	v_fma_f32 v74, v74, s0, -v137
	;; [unrolled: 2-line block ×3, first 2 shown]
	v_fma_f32 v67, v102, s1, -v67
	v_fma_f32 v72, v102, s2, -v65
	v_fmac_f32_e32 v65, 0x3d64c772, v73
	v_fma_f32 v73, v77, s0, -v138
	v_fmac_f32_e32 v138, 0x3eae86e6, v75
	v_fma_f32 v75, v75, s3, -v103
	v_add_f32_e32 v64, v64, v140
	v_fmac_f32_e32 v137, 0x3ee1c552, v71
	v_fma_f32 v77, v98, s3, -v139
	v_add_f32_e32 v65, v65, v99
	v_add_f32_e32 v66, v66, v140
	;; [unrolled: 1-line block ×4, first 2 shown]
	v_fmac_f32_e32 v138, 0x3ee1c552, v70
	v_fmac_f32_e32 v73, 0x3ee1c552, v70
	;; [unrolled: 1-line block ×4, first 2 shown]
	v_add_f32_e32 v98, v137, v64
	v_sub_f32_e32 v137, v64, v137
	v_add_f32_e32 v64, v157, v154
	v_add_f32_e32 v70, v159, v165
	;; [unrolled: 1-line block ×3, first 2 shown]
	v_fmac_f32_e32 v77, 0x3ee1c552, v71
	v_sub_f32_e32 v99, v65, v138
	v_sub_f32_e32 v101, v72, v75
	;; [unrolled: 1-line block ×3, first 2 shown]
	v_add_f32_e32 v103, v73, v67
	v_add_f32_e32 v139, v74, v66
	v_sub_f32_e32 v140, v67, v73
	v_add_f32_e32 v152, v75, v72
	v_add_f32_e32 v138, v138, v65
	;; [unrolled: 1-line block ×3, first 2 shown]
	v_sub_f32_e32 v67, v158, v76
	v_add_f32_e32 v71, v160, v153
	v_sub_f32_e32 v72, v159, v165
	v_sub_f32_e32 v73, v160, v153
	v_add_f32_e32 v74, v161, v163
	v_sub_f32_e32 v76, v163, v161
	v_add_f32_e32 v153, v70, v64
	v_add_f32_e32 v100, v77, v151
	v_sub_f32_e32 v151, v151, v77
	v_sub_f32_e32 v66, v157, v154
	v_add_f32_e32 v75, v162, v164
	v_sub_f32_e32 v77, v164, v162
	v_add_f32_e32 v154, v71, v65
	v_sub_f32_e32 v155, v70, v64
	v_sub_f32_e32 v157, v64, v74
	;; [unrolled: 1-line block ×3, first 2 shown]
	v_add_f32_e32 v64, v76, v72
	v_add_f32_e32 v74, v74, v153
	v_sub_f32_e32 v156, v71, v65
	v_sub_f32_e32 v158, v65, v75
	;; [unrolled: 1-line block ×3, first 2 shown]
	v_add_f32_e32 v65, v77, v73
	v_sub_f32_e32 v159, v76, v72
	v_sub_f32_e32 v76, v66, v76
	v_sub_f32_e32 v72, v72, v66
	v_add_f32_e32 v75, v75, v154
	v_add_f32_e32 v66, v64, v66
	v_add_f32_e32 v64, v68, v74
	v_sub_f32_e32 v160, v77, v73
	v_sub_f32_e32 v77, v67, v77
	;; [unrolled: 1-line block ×3, first 2 shown]
	v_add_f32_e32 v67, v65, v67
	v_add_f32_e32 v65, v69, v75
	v_mov_b32_e32 v161, v64
	v_mul_f32_e32 v68, 0x3f4a47b2, v157
	v_mul_f32_e32 v69, 0x3f4a47b2, v158
	;; [unrolled: 1-line block ×8, first 2 shown]
	v_fmac_f32_e32 v161, 0xbf955555, v74
	v_mov_b32_e32 v74, v65
	v_fmac_f32_e32 v74, 0xbf955555, v75
	v_fma_f32 v75, v155, s1, -v153
	v_fma_f32 v153, v156, s1, -v154
	;; [unrolled: 1-line block ×3, first 2 shown]
	v_fmac_f32_e32 v68, 0x3d64c772, v70
	v_fma_f32 v70, v156, s2, -v69
	v_fmac_f32_e32 v69, 0x3d64c772, v71
	v_fma_f32 v155, v72, s0, -v157
	;; [unrolled: 2-line block ×4, first 2 shown]
	v_fma_f32 v77, v77, s3, -v160
	v_add_f32_e32 v156, v68, v161
	v_add_f32_e32 v159, v69, v74
	v_add_f32_e32 v73, v75, v161
	v_add_f32_e32 v75, v153, v74
	v_add_f32_e32 v153, v154, v161
	v_add_f32_e32 v154, v70, v74
	v_fmac_f32_e32 v157, 0x3ee1c552, v66
	v_fmac_f32_e32 v158, 0x3ee1c552, v67
	;; [unrolled: 1-line block ×6, first 2 shown]
	ds_write_b64 v142, v[84:85] offset:312
	ds_write_b64 v142, v[86:87] offset:624
	;; [unrolled: 1-line block ×6, first 2 shown]
	ds_write2_b64 v142, v[82:83], v[96:97] offset1:13
	ds_write_b64 v142, v[98:99] offset:416
	ds_write_b64 v142, v[100:101] offset:728
	;; [unrolled: 1-line block ×6, first 2 shown]
	v_lshl_add_u32 v151, v81, 3, v80
	v_add_f32_e32 v68, v77, v153
	v_sub_f32_e32 v69, v154, v76
	v_sub_f32_e32 v70, v73, v72
	v_add_f32_e32 v71, v155, v75
	v_add_f32_e32 v72, v72, v73
	v_sub_f32_e32 v73, v75, v155
	v_sub_f32_e32 v74, v153, v77
	v_add_f32_e32 v75, v76, v154
	v_sub_f32_e32 v76, v156, v158
	v_add_f32_e32 v77, v157, v159
	v_add_u32_e32 v81, 0x400, v151
	v_add_f32_e32 v66, v158, v156
	v_sub_f32_e32 v67, v159, v157
	ds_write_b64 v142, v[64:65] offset:208
	ds_write2_b64 v151, v[66:67], v[68:69] offset0:65 offset1:104
	ds_write2_b64 v151, v[70:71], v[72:73] offset0:143 offset1:182
	;; [unrolled: 1-line block ×3, first 2 shown]
	s_waitcnt lgkmcnt(0)
	; wave barrier
	s_waitcnt lgkmcnt(0)
	global_load_dwordx2 v[85:86], v[104:105], off offset:2184
	s_add_u32 s0, s14, 0x888
	s_addc_u32 s1, s15, 0
	global_load_dwordx2 v[89:90], v80, s[0:1] offset:168
	global_load_dwordx2 v[91:92], v80, s[0:1] offset:336
	;; [unrolled: 1-line block ×12, first 2 shown]
	ds_read2_b64 v[81:84], v142 offset1:21
	s_waitcnt vmcnt(12) lgkmcnt(0)
	v_mul_f32_e32 v87, v82, v86
	v_mul_f32_e32 v161, v81, v86
	v_fma_f32 v160, v81, v85, -v87
	v_fmac_f32_e32 v161, v82, v85
	ds_read2_b64 v[85:88], v142 offset0:42 offset1:63
	s_waitcnt vmcnt(11)
	v_mul_f32_e32 v81, v84, v90
	v_mul_f32_e32 v82, v83, v90
	v_fma_f32 v81, v83, v89, -v81
	v_fmac_f32_e32 v82, v84, v89
	ds_write2_b64 v142, v[160:161], v[81:82] offset1:21
	s_waitcnt vmcnt(10) lgkmcnt(1)
	v_mul_f32_e32 v81, v86, v92
	v_fma_f32 v89, v85, v91, -v81
	ds_read2_b64 v[81:84], v142 offset0:84 offset1:105
	v_mul_f32_e32 v90, v85, v92
	v_fmac_f32_e32 v90, v86, v91
	s_waitcnt vmcnt(9)
	v_mul_f32_e32 v85, v88, v94
	v_mul_f32_e32 v86, v87, v94
	v_fma_f32 v85, v87, v93, -v85
	v_fmac_f32_e32 v86, v88, v93
	ds_write2_b64 v142, v[89:90], v[85:86] offset0:42 offset1:63
	s_waitcnt vmcnt(8) lgkmcnt(1)
	v_mul_f32_e32 v85, v82, v96
	v_fma_f32 v89, v81, v95, -v85
	ds_read2_b64 v[85:88], v142 offset0:126 offset1:147
	v_mul_f32_e32 v90, v81, v96
	v_fmac_f32_e32 v90, v82, v95
	s_waitcnt vmcnt(7)
	v_mul_f32_e32 v81, v84, v98
	v_mul_f32_e32 v82, v83, v98
	v_fma_f32 v81, v83, v97, -v81
	v_fmac_f32_e32 v82, v84, v97
	ds_write2_b64 v142, v[89:90], v[81:82] offset0:84 offset1:105
	;; [unrolled: 12-line block ×3, first 2 shown]
	s_waitcnt vmcnt(4) lgkmcnt(1)
	v_mul_f32_e32 v85, v82, v140
	v_fma_f32 v89, v81, v139, -v85
	ds_read2_b64 v[85:88], v142 offset0:210 offset1:231
	v_mul_f32_e32 v90, v81, v140
	v_fmac_f32_e32 v90, v82, v139
	s_waitcnt vmcnt(3)
	v_mul_f32_e32 v81, v84, v153
	v_mul_f32_e32 v82, v83, v153
	v_fma_f32 v81, v83, v152, -v81
	v_fmac_f32_e32 v82, v84, v152
	ds_read_b64 v[83:84], v142 offset:2016
	ds_write2_b64 v142, v[89:90], v[81:82] offset0:168 offset1:189
	s_waitcnt vmcnt(2) lgkmcnt(2)
	v_mul_f32_e32 v81, v86, v155
	v_mul_f32_e32 v82, v85, v155
	v_fma_f32 v81, v85, v154, -v81
	v_fmac_f32_e32 v82, v86, v154
	s_waitcnt vmcnt(1)
	v_mul_f32_e32 v85, v88, v157
	v_mul_f32_e32 v86, v87, v157
	v_fma_f32 v85, v87, v156, -v85
	v_fmac_f32_e32 v86, v88, v156
	ds_write2_b64 v142, v[81:82], v[85:86] offset0:210 offset1:231
	s_waitcnt vmcnt(0) lgkmcnt(2)
	v_mul_f32_e32 v81, v84, v159
	v_mul_f32_e32 v82, v83, v159
	v_fma_f32 v81, v83, v158, -v81
	v_fmac_f32_e32 v82, v84, v158
	ds_write_b64 v142, v[81:82] offset:2016
	s_and_saveexec_b64 s[2:3], vcc
	s_cbranch_execz .LBB0_9
; %bb.8:
	v_mov_b32_e32 v81, s1
	v_add_co_u32_e64 v80, s[0:1], s0, v80
	v_addc_co_u32_e64 v81, s[0:1], 0, v81, s[0:1]
	global_load_dwordx2 v[139:140], v[80:81], off offset:104
	global_load_dwordx2 v[152:153], v[80:81], off offset:272
	;; [unrolled: 1-line block ×13, first 2 shown]
	ds_read2_b64 v[80:83], v142 offset0:13 offset1:34
	ds_read2_b64 v[84:87], v142 offset0:55 offset1:76
	;; [unrolled: 1-line block ×6, first 2 shown]
	ds_read_b64 v[176:177], v142 offset:2120
	s_waitcnt vmcnt(12) lgkmcnt(6)
	v_mul_f32_e32 v178, v81, v140
	v_mul_f32_e32 v179, v80, v140
	s_waitcnt vmcnt(11)
	v_mul_f32_e32 v180, v83, v153
	v_mul_f32_e32 v140, v82, v153
	s_waitcnt vmcnt(10) lgkmcnt(5)
	v_mul_f32_e32 v181, v85, v155
	v_mul_f32_e32 v153, v84, v155
	s_waitcnt vmcnt(9)
	v_mul_f32_e32 v182, v87, v157
	v_mul_f32_e32 v155, v86, v157
	;; [unrolled: 6-line block ×6, first 2 shown]
	s_waitcnt vmcnt(0) lgkmcnt(0)
	v_mul_f32_e32 v191, v177, v175
	v_mul_f32_e32 v173, v176, v175
	v_fma_f32 v178, v80, v139, -v178
	v_fmac_f32_e32 v179, v81, v139
	v_fma_f32 v139, v82, v152, -v180
	v_fmac_f32_e32 v140, v83, v152
	;; [unrolled: 2-line block ×13, first 2 shown]
	ds_write2_b64 v142, v[178:179], v[139:140] offset0:13 offset1:34
	ds_write2_b64 v142, v[152:153], v[154:155] offset0:55 offset1:76
	;; [unrolled: 1-line block ×6, first 2 shown]
	ds_write_b64 v142, v[172:173] offset:2120
.LBB0_9:
	s_or_b64 exec, exec, s[2:3]
	s_waitcnt lgkmcnt(0)
	; wave barrier
	s_waitcnt lgkmcnt(0)
	ds_read2_b64 v[100:103], v142 offset1:21
	ds_read2_b64 v[92:95], v142 offset0:42 offset1:63
	ds_read2_b64 v[84:87], v142 offset0:84 offset1:105
	;; [unrolled: 1-line block ×5, first 2 shown]
	ds_read_b64 v[139:140], v142 offset:2016
	s_and_saveexec_b64 s[0:1], vcc
	s_cbranch_execz .LBB0_11
; %bb.10:
	v_lshl_add_u32 v0, v141, 3, v143
	ds_read_b64 v[137:138], v142 offset:104
	ds_read2_b64 v[64:67], v0 offset0:34 offset1:55
	ds_read2_b64 v[68:71], v0 offset0:76 offset1:97
	;; [unrolled: 1-line block ×5, first 2 shown]
	v_add_u32_e32 v0, 0x400, v0
	ds_read2_b64 v[0:3], v0 offset0:116 offset1:137
	s_waitcnt lgkmcnt(3)
	v_mov_b32_e32 v135, v78
	v_mov_b32_e32 v136, v79
	s_waitcnt lgkmcnt(1)
	v_mov_b32_e32 v133, v152
	v_mov_b32_e32 v134, v153
	;; [unrolled: 1-line block ×4, first 2 shown]
.LBB0_11:
	s_or_b64 exec, exec, s[0:1]
	s_waitcnt lgkmcnt(6)
	v_add_f32_e32 v152, v100, v102
	v_add_f32_e32 v153, v101, v103
	s_waitcnt lgkmcnt(5)
	v_add_f32_e32 v152, v152, v92
	v_add_f32_e32 v153, v153, v93
	v_add_f32_e32 v152, v152, v94
	v_add_f32_e32 v153, v153, v95
	s_waitcnt lgkmcnt(4)
	v_add_f32_e32 v152, v152, v84
	v_add_f32_e32 v153, v153, v85
	;; [unrolled: 5-line block ×5, first 2 shown]
	v_add_f32_e32 v152, v152, v98
	s_waitcnt lgkmcnt(0)
	v_add_f32_e32 v155, v140, v103
	v_sub_f32_e32 v103, v103, v140
	v_add_f32_e32 v153, v153, v99
	v_add_f32_e32 v152, v152, v139
	;; [unrolled: 1-line block ×3, first 2 shown]
	v_sub_f32_e32 v102, v102, v139
	v_mul_f32_e32 v139, 0xbeedf032, v103
	v_mul_f32_e32 v158, 0xbf52af12, v103
	;; [unrolled: 1-line block ×6, first 2 shown]
	v_add_f32_e32 v153, v153, v140
	s_mov_b32 s2, 0x3f62ad3f
	v_mov_b32_e32 v140, v139
	s_mov_b32 s3, 0x3f116cb1
	v_mov_b32_e32 v159, v158
	;; [unrolled: 2-line block ×6, first 2 shown]
	v_fmac_f32_e32 v140, 0x3f62ad3f, v154
	v_mul_f32_e32 v156, 0x3f62ad3f, v155
	v_fma_f32 v139, v154, s2, -v139
	v_fmac_f32_e32 v159, 0x3f116cb1, v154
	v_mul_f32_e32 v160, 0x3f116cb1, v155
	v_fma_f32 v158, v154, s3, -v158
	v_fmac_f32_e32 v163, 0x3df6dbef, v154
	v_mul_f32_e32 v164, 0x3df6dbef, v155
	v_fma_f32 v162, v154, s4, -v162
	v_fmac_f32_e32 v167, 0xbeb58ec6, v154
	v_mul_f32_e32 v168, 0xbeb58ec6, v155
	v_fma_f32 v166, v154, s5, -v166
	v_fmac_f32_e32 v171, 0xbf3f9e67, v154
	v_mul_f32_e32 v172, 0xbf3f9e67, v155
	v_fma_f32 v170, v154, s12, -v170
	v_fmac_f32_e32 v174, 0xbf788fa5, v154
	v_mul_f32_e32 v155, 0xbf788fa5, v155
	v_fma_f32 v103, v154, s13, -v103
	v_add_f32_e32 v140, v100, v140
	v_mov_b32_e32 v157, v156
	v_add_f32_e32 v139, v100, v139
	v_add_f32_e32 v159, v100, v159
	v_mov_b32_e32 v161, v160
	v_add_f32_e32 v158, v100, v158
	;; [unrolled: 3-line block ×6, first 2 shown]
	v_add_f32_e32 v103, v99, v93
	v_sub_f32_e32 v93, v93, v99
	v_fmac_f32_e32 v157, 0x3eedf032, v102
	v_fmac_f32_e32 v156, 0xbeedf032, v102
	;; [unrolled: 1-line block ×12, first 2 shown]
	v_add_f32_e32 v102, v98, v92
	v_sub_f32_e32 v92, v92, v98
	v_mul_f32_e32 v98, 0xbf52af12, v93
	v_mov_b32_e32 v99, v98
	v_fmac_f32_e32 v99, 0x3f116cb1, v102
	v_add_f32_e32 v99, v99, v140
	v_mul_f32_e32 v140, 0x3f116cb1, v103
	v_add_f32_e32 v156, v101, v156
	v_mov_b32_e32 v154, v140
	v_fma_f32 v98, v102, s3, -v98
	v_fmac_f32_e32 v140, 0xbf52af12, v92
	v_add_f32_e32 v98, v98, v139
	v_add_f32_e32 v139, v140, v156
	v_mul_f32_e32 v140, 0xbf6f5d39, v93
	v_add_f32_e32 v157, v101, v157
	v_add_f32_e32 v161, v101, v161
	;; [unrolled: 1-line block ×11, first 2 shown]
	v_mov_b32_e32 v155, v140
	v_fma_f32 v140, v102, s5, -v140
	v_fmac_f32_e32 v154, 0x3f52af12, v92
	v_fmac_f32_e32 v155, 0xbeb58ec6, v102
	v_mul_f32_e32 v156, 0xbeb58ec6, v103
	v_add_f32_e32 v140, v140, v158
	v_mul_f32_e32 v158, 0xbe750f2a, v93
	v_add_f32_e32 v154, v154, v157
	v_add_f32_e32 v155, v155, v159
	v_mov_b32_e32 v157, v156
	v_fmac_f32_e32 v156, 0xbf6f5d39, v92
	v_mov_b32_e32 v159, v158
	v_fma_f32 v158, v102, s13, -v158
	v_fmac_f32_e32 v157, 0x3f6f5d39, v92
	v_add_f32_e32 v156, v156, v160
	v_fmac_f32_e32 v159, 0xbf788fa5, v102
	v_mul_f32_e32 v160, 0xbf788fa5, v103
	v_add_f32_e32 v158, v158, v162
	v_mul_f32_e32 v162, 0x3f29c268, v93
	v_add_f32_e32 v157, v157, v161
	v_add_f32_e32 v159, v159, v163
	v_mov_b32_e32 v161, v160
	v_fmac_f32_e32 v160, 0xbe750f2a, v92
	v_mov_b32_e32 v163, v162
	v_fma_f32 v162, v102, s12, -v162
	v_fmac_f32_e32 v161, 0x3e750f2a, v92
	v_add_f32_e32 v160, v160, v164
	v_fmac_f32_e32 v163, 0xbf3f9e67, v102
	v_mul_f32_e32 v164, 0xbf3f9e67, v103
	v_add_f32_e32 v162, v162, v166
	v_mul_f32_e32 v166, 0x3f7e222b, v93
	v_add_f32_e32 v161, v161, v165
	v_add_f32_e32 v163, v163, v167
	v_mov_b32_e32 v165, v164
	v_fmac_f32_e32 v164, 0x3f29c268, v92
	v_mov_b32_e32 v167, v166
	v_fmac_f32_e32 v165, 0xbf29c268, v92
	v_add_f32_e32 v164, v164, v168
	v_fmac_f32_e32 v167, 0x3df6dbef, v102
	v_mul_f32_e32 v168, 0x3df6dbef, v103
	v_mul_f32_e32 v103, 0x3f62ad3f, v103
	v_add_f32_e32 v165, v165, v169
	v_add_f32_e32 v167, v167, v171
	v_mov_b32_e32 v169, v168
	v_fma_f32 v166, v102, s4, -v166
	v_mul_f32_e32 v93, 0x3eedf032, v93
	v_mov_b32_e32 v171, v103
	v_fmac_f32_e32 v103, 0x3eedf032, v92
	v_fmac_f32_e32 v169, 0xbf7e222b, v92
	v_add_f32_e32 v166, v166, v170
	v_fmac_f32_e32 v168, 0x3f7e222b, v92
	v_mov_b32_e32 v170, v93
	v_fmac_f32_e32 v171, 0xbeedf032, v92
	v_fma_f32 v93, v102, s2, -v93
	v_add_f32_e32 v92, v103, v101
	v_add_f32_e32 v101, v97, v95
	v_sub_f32_e32 v95, v95, v97
	v_add_f32_e32 v93, v93, v100
	v_add_f32_e32 v100, v96, v94
	v_sub_f32_e32 v94, v94, v96
	v_mul_f32_e32 v96, 0xbf7e222b, v95
	v_mov_b32_e32 v97, v96
	v_fmac_f32_e32 v97, 0x3df6dbef, v100
	v_add_f32_e32 v97, v97, v99
	v_mul_f32_e32 v99, 0x3df6dbef, v101
	v_fmac_f32_e32 v170, 0x3f62ad3f, v102
	v_mov_b32_e32 v102, v99
	v_fma_f32 v96, v100, s4, -v96
	v_fmac_f32_e32 v99, 0xbf7e222b, v94
	v_add_f32_e32 v96, v96, v98
	v_add_f32_e32 v98, v99, v139
	v_mul_f32_e32 v99, 0xbe750f2a, v95
	v_mov_b32_e32 v103, v99
	v_fma_f32 v99, v100, s13, -v99
	v_fmac_f32_e32 v102, 0x3f7e222b, v94
	v_fmac_f32_e32 v103, 0xbf788fa5, v100
	v_mul_f32_e32 v139, 0xbf788fa5, v101
	v_add_f32_e32 v99, v99, v140
	v_mul_f32_e32 v140, 0x3f6f5d39, v95
	v_add_f32_e32 v102, v102, v154
	v_add_f32_e32 v103, v103, v155
	v_mov_b32_e32 v154, v139
	v_fmac_f32_e32 v139, 0xbe750f2a, v94
	v_mov_b32_e32 v155, v140
	v_fma_f32 v140, v100, s5, -v140
	v_fmac_f32_e32 v154, 0x3e750f2a, v94
	v_add_f32_e32 v139, v139, v156
	v_fmac_f32_e32 v155, 0xbeb58ec6, v100
	v_mul_f32_e32 v156, 0xbeb58ec6, v101
	v_add_f32_e32 v140, v140, v158
	v_mul_f32_e32 v158, 0x3eedf032, v95
	v_add_f32_e32 v154, v154, v157
	v_add_f32_e32 v155, v155, v159
	v_mov_b32_e32 v157, v156
	v_fmac_f32_e32 v156, 0x3f6f5d39, v94
	v_mov_b32_e32 v159, v158
	v_fma_f32 v158, v100, s2, -v158
	v_fmac_f32_e32 v157, 0xbf6f5d39, v94
	v_add_f32_e32 v156, v156, v160
	v_fmac_f32_e32 v159, 0x3f62ad3f, v100
	v_mul_f32_e32 v160, 0x3f62ad3f, v101
	v_add_f32_e32 v158, v158, v162
	v_mul_f32_e32 v162, 0xbf52af12, v95
	v_add_f32_e32 v157, v157, v161
	v_add_f32_e32 v159, v159, v163
	v_mov_b32_e32 v161, v160
	v_fmac_f32_e32 v160, 0x3eedf032, v94
	v_mov_b32_e32 v163, v162
	v_fma_f32 v162, v100, s3, -v162
	v_mul_f32_e32 v95, 0xbf29c268, v95
	v_fmac_f32_e32 v161, 0xbeedf032, v94
	v_add_f32_e32 v160, v160, v164
	v_fmac_f32_e32 v163, 0x3f116cb1, v100
	v_mul_f32_e32 v164, 0x3f116cb1, v101
	v_add_f32_e32 v162, v162, v166
	v_mov_b32_e32 v166, v95
	v_mul_f32_e32 v101, 0xbf3f9e67, v101
	v_fma_f32 v95, v100, s12, -v95
	v_add_f32_e32 v161, v161, v165
	v_add_f32_e32 v163, v163, v167
	v_mov_b32_e32 v165, v164
	v_mov_b32_e32 v167, v101
	v_add_f32_e32 v93, v95, v93
	v_add_f32_e32 v95, v91, v85
	v_sub_f32_e32 v85, v85, v91
	v_fmac_f32_e32 v165, 0x3f52af12, v94
	v_fmac_f32_e32 v164, 0xbf52af12, v94
	v_fmac_f32_e32 v167, 0x3f29c268, v94
	v_fmac_f32_e32 v101, 0xbf29c268, v94
	v_add_f32_e32 v94, v90, v84
	v_sub_f32_e32 v84, v84, v90
	v_mul_f32_e32 v90, 0xbf6f5d39, v85
	v_mov_b32_e32 v91, v90
	v_fmac_f32_e32 v91, 0xbeb58ec6, v94
	v_add_f32_e32 v91, v91, v97
	v_mul_f32_e32 v97, 0xbeb58ec6, v95
	v_fmac_f32_e32 v166, 0xbf3f9e67, v100
	v_mov_b32_e32 v100, v97
	v_fma_f32 v90, v94, s5, -v90
	v_fmac_f32_e32 v97, 0xbf6f5d39, v84
	v_add_f32_e32 v92, v101, v92
	v_fmac_f32_e32 v100, 0x3f6f5d39, v84
	v_add_f32_e32 v90, v90, v96
	v_add_f32_e32 v96, v97, v98
	v_mul_f32_e32 v97, 0x3f29c268, v85
	v_mul_f32_e32 v101, 0xbf3f9e67, v95
	v_add_f32_e32 v100, v100, v102
	v_mov_b32_e32 v98, v97
	v_mov_b32_e32 v102, v101
	v_fma_f32 v97, v94, s12, -v97
	v_fmac_f32_e32 v101, 0x3f29c268, v84
	v_fmac_f32_e32 v98, 0xbf3f9e67, v94
	v_add_f32_e32 v97, v97, v99
	v_add_f32_e32 v99, v101, v139
	v_mul_f32_e32 v101, 0x3eedf032, v85
	v_add_f32_e32 v98, v98, v103
	v_mov_b32_e32 v103, v101
	v_fma_f32 v101, v94, s2, -v101
	v_fmac_f32_e32 v102, 0xbf29c268, v84
	v_fmac_f32_e32 v103, 0x3f62ad3f, v94
	v_mul_f32_e32 v139, 0x3f62ad3f, v95
	v_add_f32_e32 v101, v101, v140
	v_mul_f32_e32 v140, 0xbf7e222b, v85
	v_add_f32_e32 v102, v102, v154
	v_add_f32_e32 v103, v103, v155
	v_mov_b32_e32 v154, v139
	v_fmac_f32_e32 v139, 0x3eedf032, v84
	v_mov_b32_e32 v155, v140
	v_fma_f32 v140, v94, s4, -v140
	v_fmac_f32_e32 v154, 0xbeedf032, v84
	v_add_f32_e32 v139, v139, v156
	v_fmac_f32_e32 v155, 0x3df6dbef, v94
	v_mul_f32_e32 v156, 0x3df6dbef, v95
	v_add_f32_e32 v140, v140, v158
	v_mul_f32_e32 v158, 0x3e750f2a, v85
	v_add_f32_e32 v154, v154, v157
	v_add_f32_e32 v155, v155, v159
	v_mov_b32_e32 v157, v156
	v_fmac_f32_e32 v156, 0xbf7e222b, v84
	v_mov_b32_e32 v159, v158
	v_fma_f32 v158, v94, s13, -v158
	v_mul_f32_e32 v85, 0x3f52af12, v85
	v_fmac_f32_e32 v157, 0x3f7e222b, v84
	v_add_f32_e32 v156, v156, v160
	v_fmac_f32_e32 v159, 0xbf788fa5, v94
	v_mul_f32_e32 v160, 0xbf788fa5, v95
	v_add_f32_e32 v158, v158, v162
	v_mov_b32_e32 v162, v85
	v_mul_f32_e32 v95, 0x3f116cb1, v95
	v_fma_f32 v85, v94, s3, -v85
	v_add_f32_e32 v157, v157, v161
	v_add_f32_e32 v159, v159, v163
	v_mov_b32_e32 v161, v160
	v_mov_b32_e32 v163, v95
	v_add_f32_e32 v85, v85, v93
	v_fmac_f32_e32 v95, 0x3f52af12, v84
	v_add_f32_e32 v93, v89, v87
	v_sub_f32_e32 v87, v87, v89
	v_fmac_f32_e32 v161, 0xbe750f2a, v84
	v_fmac_f32_e32 v160, 0x3e750f2a, v84
	;; [unrolled: 1-line block ×3, first 2 shown]
	v_add_f32_e32 v84, v95, v92
	v_add_f32_e32 v92, v88, v86
	v_sub_f32_e32 v86, v86, v88
	v_mul_f32_e32 v88, 0xbf29c268, v87
	v_mov_b32_e32 v89, v88
	v_fmac_f32_e32 v89, 0xbf3f9e67, v92
	v_add_f32_e32 v89, v89, v91
	v_mul_f32_e32 v91, 0xbf3f9e67, v93
	v_fmac_f32_e32 v162, 0x3f116cb1, v94
	v_mov_b32_e32 v94, v91
	v_fma_f32 v88, v92, s12, -v88
	v_fmac_f32_e32 v91, 0xbf29c268, v86
	v_add_f32_e32 v88, v88, v90
	v_add_f32_e32 v90, v91, v96
	v_mul_f32_e32 v91, 0x3f7e222b, v87
	v_mov_b32_e32 v95, v91
	v_fmac_f32_e32 v95, 0x3df6dbef, v92
	v_mul_f32_e32 v96, 0x3df6dbef, v93
	v_fma_f32 v91, v92, s4, -v91
	v_add_f32_e32 v95, v95, v98
	v_mov_b32_e32 v98, v96
	v_add_f32_e32 v91, v91, v97
	v_fmac_f32_e32 v96, 0x3f7e222b, v86
	v_mul_f32_e32 v97, 0xbf52af12, v87
	v_fmac_f32_e32 v94, 0x3f29c268, v86
	v_add_f32_e32 v96, v96, v99
	v_mov_b32_e32 v99, v97
	v_fma_f32 v97, v92, s3, -v97
	v_add_f32_e32 v94, v94, v100
	v_fmac_f32_e32 v98, 0xbf7e222b, v86
	v_fmac_f32_e32 v99, 0x3f116cb1, v92
	v_mul_f32_e32 v100, 0x3f116cb1, v93
	v_add_f32_e32 v97, v97, v101
	v_mul_f32_e32 v101, 0x3e750f2a, v87
	v_add_f32_e32 v98, v98, v102
	v_add_f32_e32 v99, v99, v103
	v_mov_b32_e32 v102, v100
	v_fmac_f32_e32 v100, 0xbf52af12, v86
	v_mov_b32_e32 v103, v101
	v_fma_f32 v101, v92, s13, -v101
	v_fmac_f32_e32 v102, 0x3f52af12, v86
	v_add_f32_e32 v100, v100, v139
	v_fmac_f32_e32 v103, 0xbf788fa5, v92
	v_mul_f32_e32 v139, 0xbf788fa5, v93
	v_add_f32_e32 v101, v101, v140
	v_mul_f32_e32 v140, 0x3eedf032, v87
	v_add_f32_e32 v102, v102, v154
	v_add_f32_e32 v103, v103, v155
	v_mov_b32_e32 v154, v139
	v_fmac_f32_e32 v139, 0x3e750f2a, v86
	v_mov_b32_e32 v155, v140
	v_add_f32_e32 v171, v171, v175
	v_add_f32_e32 v139, v139, v156
	v_fmac_f32_e32 v155, 0x3f62ad3f, v92
	v_mul_f32_e32 v156, 0x3f62ad3f, v93
	v_mul_f32_e32 v93, 0xbeb58ec6, v93
	v_add_f32_e32 v167, v167, v171
	v_add_f32_e32 v155, v155, v159
	v_mov_b32_e32 v159, v93
	v_add_f32_e32 v169, v169, v173
	v_add_f32_e32 v170, v170, v174
	;; [unrolled: 1-line block ×3, first 2 shown]
	v_fma_f32 v140, v92, s2, -v140
	v_mul_f32_e32 v87, 0xbf6f5d39, v87
	v_fmac_f32_e32 v159, 0x3f6f5d39, v86
	v_add_f32_e32 v168, v168, v172
	v_add_f32_e32 v165, v165, v169
	;; [unrolled: 1-line block ×3, first 2 shown]
	v_fmac_f32_e32 v154, 0xbe750f2a, v86
	v_add_f32_e32 v140, v140, v158
	v_mov_b32_e32 v158, v87
	v_add_f32_e32 v159, v159, v163
	v_add_f32_e32 v163, v83, v81
	;; [unrolled: 1-line block ×6, first 2 shown]
	v_mov_b32_e32 v157, v156
	v_fmac_f32_e32 v158, 0xbeb58ec6, v92
	v_sub_f32_e32 v165, v81, v83
	v_mul_f32_e32 v83, 0xbf788fa5, v163
	v_add_f32_e32 v160, v160, v164
	v_fmac_f32_e32 v157, 0xbeedf032, v86
	v_fmac_f32_e32 v156, 0x3eedf032, v86
	v_add_f32_e32 v158, v158, v162
	v_fmac_f32_e32 v93, 0xbf6f5d39, v86
	v_add_f32_e32 v162, v82, v80
	v_sub_f32_e32 v164, v80, v82
	v_mul_f32_e32 v82, 0xbe750f2a, v165
	v_mov_b32_e32 v81, v83
	v_mul_f32_e32 v86, 0x3eedf032, v165
	v_add_f32_e32 v157, v157, v161
	v_fma_f32 v87, v92, s5, -v87
	v_add_f32_e32 v161, v93, v84
	v_mov_b32_e32 v80, v82
	v_fmac_f32_e32 v81, 0x3e750f2a, v164
	v_fmac_f32_e32 v83, 0xbe750f2a, v164
	v_mov_b32_e32 v84, v86
	v_fma_f32 v86, v162, s2, -v86
	v_add_f32_e32 v156, v156, v160
	v_add_f32_e32 v160, v87, v85
	v_fmac_f32_e32 v80, 0xbf788fa5, v162
	v_add_f32_e32 v81, v81, v94
	v_fma_f32 v82, v162, s13, -v82
	v_add_f32_e32 v83, v83, v90
	v_mul_f32_e32 v87, 0x3f62ad3f, v163
	v_add_f32_e32 v86, v86, v91
	v_mul_f32_e32 v90, 0xbf29c268, v165
	v_mul_f32_e32 v91, 0xbf3f9e67, v163
	v_mul_f32_e32 v94, 0x3f52af12, v165
	v_add_f32_e32 v80, v80, v89
	v_add_f32_e32 v82, v82, v88
	v_mov_b32_e32 v85, v87
	v_mov_b32_e32 v88, v90
	;; [unrolled: 1-line block ×4, first 2 shown]
	v_fmac_f32_e32 v84, 0x3f62ad3f, v162
	v_fmac_f32_e32 v85, 0xbeedf032, v164
	;; [unrolled: 1-line block ×5, first 2 shown]
	v_add_f32_e32 v84, v84, v95
	v_add_f32_e32 v85, v85, v98
	v_fmac_f32_e32 v87, 0x3eedf032, v164
	v_add_f32_e32 v88, v88, v99
	v_add_f32_e32 v89, v89, v102
	v_fma_f32 v90, v162, s12, -v90
	v_fmac_f32_e32 v91, 0xbf29c268, v164
	v_add_f32_e32 v92, v92, v103
	v_mul_f32_e32 v95, 0x3f116cb1, v163
	v_fma_f32 v94, v162, s3, -v94
	v_mul_f32_e32 v98, 0xbf6f5d39, v165
	v_mul_f32_e32 v99, 0xbeb58ec6, v163
	;; [unrolled: 1-line block ×4, first 2 shown]
	v_add_f32_e32 v87, v87, v96
	v_add_f32_e32 v90, v90, v97
	;; [unrolled: 1-line block ×3, first 2 shown]
	v_mov_b32_e32 v93, v95
	v_add_f32_e32 v94, v94, v101
	v_mov_b32_e32 v96, v98
	v_mov_b32_e32 v97, v99
	;; [unrolled: 1-line block ×4, first 2 shown]
	v_add_u32_e32 v151, 0xd0, v151
	v_fmac_f32_e32 v93, 0xbf52af12, v164
	v_fmac_f32_e32 v95, 0x3f52af12, v164
	;; [unrolled: 1-line block ×4, first 2 shown]
	v_fma_f32 v98, v162, s5, -v98
	v_fmac_f32_e32 v99, 0xbf6f5d39, v164
	v_fmac_f32_e32 v100, 0x3df6dbef, v162
	v_fmac_f32_e32 v101, 0xbf7e222b, v164
	v_fma_f32 v102, v162, s4, -v102
	v_fmac_f32_e32 v103, 0x3f7e222b, v164
	v_add_f32_e32 v93, v93, v154
	v_add_f32_e32 v95, v95, v139
	;; [unrolled: 1-line block ×10, first 2 shown]
	s_waitcnt lgkmcnt(0)
	; wave barrier
	ds_write2_b64 v145, v[152:153], v[80:81] offset1:1
	ds_write2_b64 v145, v[84:85], v[88:89] offset0:2 offset1:3
	ds_write2_b64 v145, v[92:93], v[96:97] offset0:4 offset1:5
	;; [unrolled: 1-line block ×5, first 2 shown]
	ds_write_b64 v145, v[82:83] offset:96
	s_and_saveexec_b64 s[0:1], vcc
	s_cbranch_execz .LBB0_13
; %bb.12:
	v_add_f32_e32 v90, v3, v65
	v_mul_f32_e32 v92, 0xbf788fa5, v90
	v_add_f32_e32 v91, v1, v67
	v_sub_f32_e32 v93, v64, v2
	v_mov_b32_e32 v80, v92
	v_mul_f32_e32 v94, 0x3f62ad3f, v91
	v_fmac_f32_e32 v80, 0x3e750f2a, v93
	v_sub_f32_e32 v95, v66, v0
	v_mov_b32_e32 v81, v94
	v_add_f32_e32 v96, v79, v69
	v_add_f32_e32 v80, v138, v80
	v_fmac_f32_e32 v81, 0xbeedf032, v95
	v_mul_f32_e32 v97, 0xbf3f9e67, v96
	v_add_f32_e32 v80, v81, v80
	v_sub_f32_e32 v98, v68, v78
	v_mov_b32_e32 v81, v97
	v_add_f32_e32 v99, v134, v71
	v_fmac_f32_e32 v81, 0x3f29c268, v98
	v_mul_f32_e32 v100, 0x3f116cb1, v99
	v_add_f32_e32 v80, v81, v80
	v_sub_f32_e32 v101, v70, v133
	v_mov_b32_e32 v81, v100
	;; [unrolled: 6-line block ×4, first 2 shown]
	v_sub_f32_e32 v154, v65, v3
	v_fmac_f32_e32 v81, 0xbf7e222b, v152
	v_mul_f32_e32 v155, 0xbe750f2a, v154
	v_sub_f32_e32 v157, v67, v1
	v_add_f32_e32 v81, v81, v80
	v_add_f32_e32 v153, v2, v64
	v_mov_b32_e32 v80, v155
	v_mul_f32_e32 v158, 0x3eedf032, v157
	v_fmac_f32_e32 v80, 0xbf788fa5, v153
	v_add_f32_e32 v156, v0, v66
	v_mov_b32_e32 v82, v158
	v_sub_f32_e32 v160, v69, v79
	v_add_f32_e32 v80, v137, v80
	v_fmac_f32_e32 v82, 0x3f62ad3f, v156
	v_mul_f32_e32 v161, 0xbf29c268, v160
	v_add_f32_e32 v80, v82, v80
	v_add_f32_e32 v159, v78, v68
	v_mov_b32_e32 v82, v161
	v_sub_f32_e32 v163, v71, v134
	v_fmac_f32_e32 v82, 0xbf3f9e67, v159
	v_mul_f32_e32 v164, 0x3f52af12, v163
	v_add_f32_e32 v80, v82, v80
	v_add_f32_e32 v162, v133, v70
	v_mov_b32_e32 v82, v164
	v_sub_f32_e32 v166, v73, v136
	;; [unrolled: 6-line block ×3, first 2 shown]
	v_fmac_f32_e32 v82, 0xbeb58ec6, v165
	v_mul_f32_e32 v170, 0x3f7e222b, v169
	v_add_f32_e32 v80, v82, v80
	v_add_f32_e32 v168, v76, v74
	v_mov_b32_e32 v82, v170
	v_fmac_f32_e32 v82, 0x3df6dbef, v168
	v_mul_f32_e32 v171, 0xbf3f9e67, v90
	v_add_f32_e32 v80, v82, v80
	v_mov_b32_e32 v82, v171
	v_mul_f32_e32 v172, 0x3df6dbef, v91
	v_fmac_f32_e32 v82, 0x3f29c268, v93
	v_mov_b32_e32 v83, v172
	v_add_f32_e32 v82, v138, v82
	v_fmac_f32_e32 v83, 0xbf7e222b, v95
	v_mul_f32_e32 v173, 0x3f116cb1, v96
	v_add_f32_e32 v82, v83, v82
	v_mov_b32_e32 v83, v173
	v_fmac_f32_e32 v83, 0x3f52af12, v98
	v_mul_f32_e32 v174, 0xbf788fa5, v99
	v_add_f32_e32 v82, v83, v82
	v_mov_b32_e32 v83, v174
	;; [unrolled: 4-line block ×5, first 2 shown]
	v_mul_f32_e32 v178, 0x3f7e222b, v157
	v_fmac_f32_e32 v82, 0xbf3f9e67, v153
	v_mov_b32_e32 v84, v178
	v_add_f32_e32 v82, v137, v82
	v_fmac_f32_e32 v84, 0x3df6dbef, v156
	v_mul_f32_e32 v179, 0xbf52af12, v160
	v_add_f32_e32 v82, v84, v82
	v_mov_b32_e32 v84, v179
	v_fmac_f32_e32 v84, 0x3f116cb1, v159
	v_mul_f32_e32 v180, 0x3e750f2a, v163
	v_add_f32_e32 v82, v84, v82
	v_mov_b32_e32 v84, v180
	v_fmac_f32_e32 v84, 0xbf788fa5, v162
	v_mul_f32_e32 v181, 0x3eedf032, v166
	v_add_f32_e32 v82, v84, v82
	v_mov_b32_e32 v84, v181
	v_fmac_f32_e32 v84, 0x3f62ad3f, v165
	v_mul_f32_e32 v182, 0xbf6f5d39, v169
	v_add_f32_e32 v82, v84, v82
	v_mov_b32_e32 v84, v182
	v_fmac_f32_e32 v84, 0xbeb58ec6, v168
	v_mul_f32_e32 v183, 0xbeb58ec6, v90
	v_add_f32_e32 v82, v84, v82
	v_mov_b32_e32 v84, v183
	v_mul_f32_e32 v184, 0xbf3f9e67, v91
	v_fmac_f32_e32 v84, 0x3f6f5d39, v93
	v_mov_b32_e32 v85, v184
	v_add_f32_e32 v84, v138, v84
	v_fmac_f32_e32 v85, 0xbf29c268, v95
	v_mul_f32_e32 v185, 0x3f62ad3f, v96
	v_add_f32_e32 v84, v85, v84
	v_mov_b32_e32 v85, v185
	v_fmac_f32_e32 v85, 0xbeedf032, v98
	v_mul_f32_e32 v186, 0x3df6dbef, v99
	v_add_f32_e32 v84, v85, v84
	v_mov_b32_e32 v85, v186
	v_add_f32_e32 v65, v65, v138
	v_fmac_f32_e32 v85, 0x3f7e222b, v101
	v_mul_f32_e32 v187, 0xbf788fa5, v102
	v_add_f32_e32 v65, v67, v65
	v_add_f32_e32 v84, v85, v84
	v_mov_b32_e32 v85, v187
	v_add_f32_e32 v65, v69, v65
	v_fmac_f32_e32 v85, 0xbe750f2a, v139
	v_mul_f32_e32 v188, 0x3f116cb1, v140
	v_add_f32_e32 v65, v71, v65
	;; [unrolled: 6-line block ×3, first 2 shown]
	v_add_f32_e32 v85, v85, v84
	v_mov_b32_e32 v84, v189
	v_mul_f32_e32 v190, 0x3f29c268, v157
	v_add_f32_e32 v65, v77, v65
	v_fmac_f32_e32 v84, 0xbeb58ec6, v153
	v_mov_b32_e32 v86, v190
	v_add_f32_e32 v65, v136, v65
	v_add_f32_e32 v84, v137, v84
	v_fmac_f32_e32 v86, 0xbf3f9e67, v156
	v_mul_f32_e32 v191, 0x3eedf032, v160
	v_add_f32_e32 v65, v134, v65
	v_add_f32_e32 v84, v86, v84
	v_mov_b32_e32 v86, v191
	v_add_f32_e32 v65, v79, v65
	v_fmac_f32_e32 v86, 0x3f62ad3f, v159
	v_mul_f32_e32 v192, 0xbf7e222b, v163
	v_add_f32_e32 v1, v1, v65
	v_add_f32_e32 v84, v86, v84
	v_mov_b32_e32 v86, v192
	v_add_f32_e32 v1, v3, v1
	v_add_f32_e32 v3, v64, v137
	v_fmac_f32_e32 v86, 0x3df6dbef, v162
	v_mul_f32_e32 v193, 0x3e750f2a, v166
	v_add_f32_e32 v3, v66, v3
	v_add_f32_e32 v84, v86, v84
	v_mov_b32_e32 v86, v193
	v_add_f32_e32 v3, v68, v3
	v_fmac_f32_e32 v86, 0xbf788fa5, v165
	v_mul_f32_e32 v194, 0x3f52af12, v169
	v_add_f32_e32 v3, v70, v3
	v_add_f32_e32 v84, v86, v84
	v_mov_b32_e32 v86, v194
	;; [unrolled: 6-line block ×3, first 2 shown]
	v_mul_f32_e32 v196, 0xbf788fa5, v91
	v_add_f32_e32 v3, v76, v3
	v_fmac_f32_e32 v86, 0x3f7e222b, v93
	v_mov_b32_e32 v87, v196
	v_add_f32_e32 v3, v135, v3
	v_add_f32_e32 v86, v138, v86
	v_fmac_f32_e32 v87, 0x3e750f2a, v95
	v_mul_f32_e32 v197, 0xbeb58ec6, v96
	v_add_f32_e32 v3, v133, v3
	v_add_f32_e32 v86, v87, v86
	v_mov_b32_e32 v87, v197
	v_add_f32_e32 v3, v78, v3
	v_fmac_f32_e32 v87, 0xbf6f5d39, v98
	v_mul_f32_e32 v198, 0x3f62ad3f, v99
	v_add_f32_e32 v0, v0, v3
	v_fmac_f32_e32 v92, 0xbe750f2a, v93
	v_add_f32_e32 v86, v87, v86
	v_mov_b32_e32 v87, v198
	v_add_f32_e32 v0, v2, v0
	v_add_f32_e32 v2, v138, v92
	v_fmac_f32_e32 v94, 0x3eedf032, v95
	v_fmac_f32_e32 v87, 0xbeedf032, v101
	v_mul_f32_e32 v199, 0x3f116cb1, v102
	v_add_f32_e32 v2, v94, v2
	v_fmac_f32_e32 v97, 0xbf29c268, v98
	v_add_f32_e32 v86, v87, v86
	v_mov_b32_e32 v87, v199
	v_add_f32_e32 v2, v97, v2
	v_fmac_f32_e32 v100, 0x3f52af12, v101
	v_fmac_f32_e32 v87, 0x3f52af12, v139
	v_mul_f32_e32 v200, 0xbf3f9e67, v140
	v_add_f32_e32 v2, v100, v2
	v_fmac_f32_e32 v103, 0xbf6f5d39, v139
	v_add_f32_e32 v86, v87, v86
	v_mov_b32_e32 v87, v200
	v_add_f32_e32 v2, v103, v2
	v_fmac_f32_e32 v145, 0x3f7e222b, v152
	v_fmac_f32_e32 v87, 0x3f29c268, v152
	v_mul_f32_e32 v201, 0xbf7e222b, v154
	v_add_f32_e32 v3, v145, v2
	v_fma_f32 v2, v153, s13, -v155
	v_add_f32_e32 v87, v87, v86
	v_mov_b32_e32 v86, v201
	v_mul_f32_e32 v202, 0xbe750f2a, v157
	v_add_f32_e32 v2, v137, v2
	v_fma_f32 v64, v156, s2, -v158
	v_fmac_f32_e32 v86, 0x3df6dbef, v153
	v_mov_b32_e32 v88, v202
	v_add_f32_e32 v2, v64, v2
	v_fma_f32 v64, v159, s12, -v161
	v_add_f32_e32 v86, v137, v86
	v_fmac_f32_e32 v88, 0xbf788fa5, v156
	v_mul_f32_e32 v203, 0x3f6f5d39, v160
	v_add_f32_e32 v2, v64, v2
	v_fma_f32 v64, v162, s3, -v164
	v_add_f32_e32 v86, v88, v86
	v_mov_b32_e32 v88, v203
	v_add_f32_e32 v2, v64, v2
	v_fma_f32 v64, v165, s5, -v167
	v_fmac_f32_e32 v88, 0xbeb58ec6, v159
	v_mul_f32_e32 v204, 0x3eedf032, v163
	v_add_f32_e32 v2, v64, v2
	v_fma_f32 v64, v168, s4, -v170
	v_fmac_f32_e32 v171, 0xbf29c268, v93
	v_add_f32_e32 v86, v88, v86
	v_mov_b32_e32 v88, v204
	v_add_f32_e32 v2, v64, v2
	v_add_f32_e32 v64, v138, v171
	v_fmac_f32_e32 v172, 0x3f7e222b, v95
	v_fmac_f32_e32 v88, 0x3f62ad3f, v162
	v_mul_f32_e32 v205, 0xbf52af12, v166
	v_add_f32_e32 v64, v172, v64
	v_fmac_f32_e32 v173, 0xbf52af12, v98
	v_add_f32_e32 v86, v88, v86
	v_mov_b32_e32 v88, v205
	v_add_f32_e32 v64, v173, v64
	v_fmac_f32_e32 v174, 0x3e750f2a, v101
	v_fmac_f32_e32 v88, 0x3f116cb1, v165
	v_mul_f32_e32 v206, 0xbf29c268, v169
	v_add_f32_e32 v64, v174, v64
	v_fmac_f32_e32 v175, 0x3eedf032, v139
	v_add_f32_e32 v86, v88, v86
	v_mov_b32_e32 v88, v206
	v_add_f32_e32 v64, v175, v64
	v_fmac_f32_e32 v176, 0xbf6f5d39, v152
	v_fmac_f32_e32 v88, 0xbf3f9e67, v168
	v_mul_f32_e32 v207, 0x3f116cb1, v90
	v_add_f32_e32 v65, v176, v64
	v_fma_f32 v64, v153, s12, -v177
	v_add_f32_e32 v86, v88, v86
	v_mov_b32_e32 v88, v207
	v_mul_f32_e32 v208, 0xbeb58ec6, v91
	v_add_f32_e32 v64, v137, v64
	v_fma_f32 v66, v156, s4, -v178
	v_fmac_f32_e32 v88, 0x3f52af12, v93
	v_mov_b32_e32 v89, v208
	v_add_f32_e32 v64, v66, v64
	v_fma_f32 v66, v159, s3, -v179
	v_add_f32_e32 v88, v138, v88
	v_fmac_f32_e32 v89, 0x3f6f5d39, v95
	v_mul_f32_e32 v209, 0xbf788fa5, v96
	v_add_f32_e32 v64, v66, v64
	v_fma_f32 v66, v162, s13, -v180
	v_add_f32_e32 v88, v89, v88
	v_mov_b32_e32 v89, v209
	v_add_f32_e32 v64, v66, v64
	v_fma_f32 v66, v165, s2, -v181
	v_fmac_f32_e32 v89, 0x3e750f2a, v98
	v_mul_f32_e32 v210, 0xbf3f9e67, v99
	v_add_f32_e32 v64, v66, v64
	v_fma_f32 v66, v168, s5, -v182
	v_fmac_f32_e32 v183, 0xbf6f5d39, v93
	v_add_f32_e32 v88, v89, v88
	v_mov_b32_e32 v89, v210
	v_add_f32_e32 v64, v66, v64
	v_add_f32_e32 v66, v138, v183
	v_fmac_f32_e32 v184, 0x3f29c268, v95
	v_fmac_f32_e32 v89, 0xbf29c268, v101
	v_mul_f32_e32 v211, 0x3df6dbef, v102
	v_add_f32_e32 v66, v184, v66
	v_fmac_f32_e32 v185, 0x3eedf032, v98
	v_add_f32_e32 v88, v89, v88
	v_mov_b32_e32 v89, v211
	v_add_f32_e32 v66, v185, v66
	v_fmac_f32_e32 v186, 0xbf7e222b, v101
	v_fmac_f32_e32 v89, 0xbf7e222b, v139
	v_mul_f32_e32 v212, 0x3f62ad3f, v140
	v_add_f32_e32 v66, v186, v66
	v_fmac_f32_e32 v187, 0x3e750f2a, v139
	v_add_f32_e32 v88, v89, v88
	v_mov_b32_e32 v89, v212
	v_add_f32_e32 v66, v187, v66
	v_fmac_f32_e32 v188, 0x3f52af12, v152
	v_fmac_f32_e32 v89, 0xbeedf032, v152
	v_mul_f32_e32 v213, 0xbf52af12, v154
	v_add_f32_e32 v67, v188, v66
	v_fma_f32 v66, v153, s5, -v189
	v_add_f32_e32 v89, v89, v88
	v_mov_b32_e32 v88, v213
	v_mul_f32_e32 v214, 0xbf6f5d39, v157
	v_add_f32_e32 v66, v137, v66
	v_fma_f32 v68, v156, s12, -v190
	v_fmac_f32_e32 v88, 0x3f116cb1, v153
	v_mov_b32_e32 v215, v214
	v_add_f32_e32 v66, v68, v66
	v_fma_f32 v68, v159, s2, -v191
	v_add_f32_e32 v88, v137, v88
	v_fmac_f32_e32 v215, 0xbeb58ec6, v156
	v_add_f32_e32 v66, v68, v66
	v_fma_f32 v68, v162, s4, -v192
	v_add_f32_e32 v88, v215, v88
	v_mul_f32_e32 v215, 0xbe750f2a, v160
	v_add_f32_e32 v66, v68, v66
	v_fma_f32 v68, v165, s13, -v193
	v_mov_b32_e32 v216, v215
	v_add_f32_e32 v66, v68, v66
	v_fma_f32 v68, v168, s3, -v194
	v_fmac_f32_e32 v195, 0xbf7e222b, v93
	v_fmac_f32_e32 v216, 0xbf788fa5, v159
	v_add_f32_e32 v66, v68, v66
	v_add_f32_e32 v68, v138, v195
	v_fmac_f32_e32 v196, 0xbe750f2a, v95
	v_add_f32_e32 v88, v216, v88
	v_mul_f32_e32 v216, 0x3f29c268, v163
	v_add_f32_e32 v68, v196, v68
	v_fmac_f32_e32 v197, 0x3f6f5d39, v98
	v_mov_b32_e32 v217, v216
	v_add_f32_e32 v68, v197, v68
	v_fmac_f32_e32 v198, 0x3eedf032, v101
	v_fmac_f32_e32 v217, 0xbf3f9e67, v162
	v_add_f32_e32 v68, v198, v68
	v_fmac_f32_e32 v199, 0xbf52af12, v139
	v_add_f32_e32 v88, v217, v88
	v_mul_f32_e32 v217, 0x3f7e222b, v166
	v_add_f32_e32 v68, v199, v68
	v_fmac_f32_e32 v200, 0xbf29c268, v152
	v_mov_b32_e32 v218, v217
	v_add_f32_e32 v69, v200, v68
	v_fma_f32 v68, v153, s4, -v201
	v_fmac_f32_e32 v218, 0x3df6dbef, v165
	v_add_f32_e32 v68, v137, v68
	v_fma_f32 v70, v156, s13, -v202
	v_add_f32_e32 v88, v218, v88
	v_mul_f32_e32 v218, 0x3eedf032, v169
	v_add_f32_e32 v68, v70, v68
	v_fma_f32 v70, v159, s5, -v203
	v_mov_b32_e32 v219, v218
	v_add_f32_e32 v68, v70, v68
	v_fma_f32 v70, v162, s2, -v204
	v_fmac_f32_e32 v219, 0x3f62ad3f, v168
	v_add_f32_e32 v68, v70, v68
	v_fma_f32 v70, v165, s3, -v205
	v_add_f32_e32 v88, v219, v88
	v_mul_f32_e32 v219, 0x3f62ad3f, v90
	v_add_f32_e32 v68, v70, v68
	v_fma_f32 v70, v168, s12, -v206
	v_fmac_f32_e32 v207, 0xbf52af12, v93
	v_mov_b32_e32 v90, v219
	v_mul_f32_e32 v220, 0x3f116cb1, v91
	v_add_f32_e32 v68, v70, v68
	v_add_f32_e32 v70, v138, v207
	v_fmac_f32_e32 v208, 0xbf6f5d39, v95
	v_fmac_f32_e32 v90, 0x3eedf032, v93
	v_mov_b32_e32 v91, v220
	v_add_f32_e32 v70, v208, v70
	v_fmac_f32_e32 v209, 0xbe750f2a, v98
	v_add_f32_e32 v90, v138, v90
	v_fmac_f32_e32 v91, 0x3f52af12, v95
	v_mul_f32_e32 v96, 0x3df6dbef, v96
	v_add_f32_e32 v70, v209, v70
	v_fmac_f32_e32 v210, 0x3f29c268, v101
	v_add_f32_e32 v90, v91, v90
	v_mov_b32_e32 v91, v96
	v_add_f32_e32 v70, v210, v70
	v_fmac_f32_e32 v211, 0x3f7e222b, v139
	v_fmac_f32_e32 v91, 0x3f7e222b, v98
	v_mul_f32_e32 v99, 0xbeb58ec6, v99
	v_add_f32_e32 v70, v211, v70
	v_fmac_f32_e32 v212, 0x3eedf032, v152
	v_add_f32_e32 v90, v91, v90
	v_mov_b32_e32 v91, v99
	v_add_f32_e32 v71, v212, v70
	v_fma_f32 v70, v153, s3, -v213
	v_fmac_f32_e32 v91, 0x3f6f5d39, v101
	v_mul_f32_e32 v102, 0xbf3f9e67, v102
	v_add_f32_e32 v70, v137, v70
	v_fma_f32 v72, v156, s5, -v214
	v_add_f32_e32 v90, v91, v90
	v_mov_b32_e32 v91, v102
	v_add_f32_e32 v70, v72, v70
	v_fma_f32 v72, v159, s13, -v215
	v_fmac_f32_e32 v91, 0x3f29c268, v139
	v_mul_f32_e32 v140, 0xbf788fa5, v140
	v_add_f32_e32 v70, v72, v70
	v_fma_f32 v72, v162, s12, -v216
	;; [unrolled: 8-line block ×3, first 2 shown]
	v_fmac_f32_e32 v219, 0xbeedf032, v93
	v_add_f32_e32 v91, v91, v90
	v_mov_b32_e32 v90, v154
	v_mul_f32_e32 v157, 0xbf52af12, v157
	v_add_f32_e32 v70, v72, v70
	v_add_f32_e32 v72, v138, v219
	v_fmac_f32_e32 v220, 0xbf52af12, v95
	v_fmac_f32_e32 v90, 0x3f62ad3f, v153
	v_mov_b32_e32 v221, v157
	v_add_f32_e32 v72, v220, v72
	v_fmac_f32_e32 v96, 0xbf7e222b, v98
	v_add_f32_e32 v90, v137, v90
	v_fmac_f32_e32 v221, 0x3f116cb1, v156
	v_mul_f32_e32 v160, 0xbf7e222b, v160
	v_add_f32_e32 v72, v96, v72
	v_fmac_f32_e32 v99, 0xbf6f5d39, v101
	v_add_f32_e32 v90, v221, v90
	v_mov_b32_e32 v221, v160
	v_add_f32_e32 v72, v99, v72
	v_fmac_f32_e32 v102, 0xbf29c268, v139
	v_fmac_f32_e32 v221, 0x3df6dbef, v159
	v_mul_f32_e32 v163, 0xbf6f5d39, v163
	v_add_f32_e32 v72, v102, v72
	v_fmac_f32_e32 v140, 0xbe750f2a, v152
	v_add_f32_e32 v90, v221, v90
	v_mov_b32_e32 v221, v163
	v_add_f32_e32 v73, v140, v72
	v_fma_f32 v72, v153, s2, -v154
	v_fmac_f32_e32 v221, 0xbeb58ec6, v162
	v_mul_f32_e32 v166, 0xbf29c268, v166
	v_add_f32_e32 v72, v137, v72
	v_fma_f32 v74, v156, s3, -v157
	v_add_f32_e32 v90, v221, v90
	v_mov_b32_e32 v221, v166
	v_add_f32_e32 v72, v74, v72
	v_fma_f32 v74, v159, s4, -v160
	v_fmac_f32_e32 v221, 0xbf3f9e67, v165
	v_mul_f32_e32 v169, 0xbe750f2a, v169
	v_add_f32_e32 v72, v74, v72
	v_fma_f32 v74, v162, s5, -v163
	v_add_f32_e32 v90, v221, v90
	v_mov_b32_e32 v221, v169
	v_add_f32_e32 v72, v74, v72
	v_fma_f32 v74, v165, s12, -v166
	v_fmac_f32_e32 v221, 0xbf788fa5, v168
	v_add_f32_e32 v72, v74, v72
	v_fma_f32 v74, v168, s13, -v169
	v_add_f32_e32 v90, v221, v90
	v_add_f32_e32 v72, v74, v72
	v_lshl_add_u32 v74, v144, 3, v143
	ds_write2_b64 v74, v[0:1], v[90:91] offset1:1
	ds_write2_b64 v74, v[88:89], v[86:87] offset0:2 offset1:3
	ds_write2_b64 v74, v[84:85], v[82:83] offset0:4 offset1:5
	;; [unrolled: 1-line block ×5, first 2 shown]
	ds_write_b64 v74, v[72:73] offset:96
.LBB0_13:
	s_or_b64 exec, exec, s[0:1]
	s_waitcnt lgkmcnt(0)
	; wave barrier
	s_waitcnt lgkmcnt(0)
	ds_read2_b64 v[64:67], v142 offset1:13
	ds_read2_b64 v[68:71], v142 offset0:78 offset1:91
	ds_read2_b64 v[72:75], v142 offset0:182 offset1:195
	;; [unrolled: 1-line block ×9, first 2 shown]
	ds_read_b64 v[2:3], v142 offset:2080
	s_waitcnt lgkmcnt(9)
	v_mul_f32_e32 v133, v5, v71
	v_fmac_f32_e32 v133, v4, v70
	v_mul_f32_e32 v70, v5, v70
	v_fma_f32 v70, v4, v71, -v70
	s_waitcnt lgkmcnt(8)
	v_mul_f32_e32 v71, v7, v73
	v_fmac_f32_e32 v71, v6, v72
	v_mul_f32_e32 v72, v7, v72
	v_fma_f32 v72, v6, v73, -v72
	s_waitcnt lgkmcnt(7)
	v_mul_f32_e32 v73, v5, v77
	v_mul_f32_e32 v5, v5, v76
	v_fmac_f32_e32 v73, v4, v76
	v_fma_f32 v76, v4, v77, -v5
	v_mul_f32_e32 v77, v7, v75
	v_mul_f32_e32 v4, v7, v74
	v_fmac_f32_e32 v77, v6, v74
	v_fma_f32 v74, v6, v75, -v4
	;; [unrolled: 4-line block ×3, first 2 shown]
	s_waitcnt lgkmcnt(5)
	v_mul_f32_e32 v79, v11, v85
	v_mul_f32_e32 v4, v11, v84
	v_fmac_f32_e32 v79, v10, v84
	v_fma_f32 v84, v10, v85, -v4
	s_waitcnt lgkmcnt(4)
	v_mul_f32_e32 v85, v13, v89
	v_mul_f32_e32 v4, v13, v88
	v_fmac_f32_e32 v85, v12, v88
	v_fma_f32 v88, v12, v89, -v4
	v_mul_f32_e32 v89, v15, v87
	v_mul_f32_e32 v4, v15, v86
	v_fmac_f32_e32 v89, v14, v86
	v_fma_f32 v86, v14, v87, -v4
	;; [unrolled: 4-line block ×3, first 2 shown]
	s_waitcnt lgkmcnt(2)
	v_mul_f32_e32 v90, v27, v97
	v_mul_f32_e32 v4, v27, v96
	v_fmac_f32_e32 v90, v26, v96
	v_fma_f32 v27, v26, v97, -v4
	s_waitcnt lgkmcnt(1)
	v_mul_f32_e32 v4, v21, v100
	v_mul_f32_e32 v91, v21, v101
	v_fma_f32 v96, v20, v101, -v4
	v_mul_f32_e32 v97, v23, v99
	v_mul_f32_e32 v4, v23, v98
	s_waitcnt lgkmcnt(0)
	v_mul_f32_e32 v101, v19, v3
	v_add_f32_e32 v23, v87, v90
	v_fmac_f32_e32 v97, v22, v98
	v_fma_f32 v98, v22, v99, -v4
	v_mul_f32_e32 v99, v17, v103
	v_fmac_f32_e32 v101, v18, v2
	v_mul_f32_e32 v2, v19, v2
	v_fma_f32 v24, -0.5, v23, v92
	v_fmac_f32_e32 v99, v16, v102
	v_mul_f32_e32 v4, v17, v102
	v_fma_f32 v102, v18, v3, -v2
	v_add_f32_e32 v3, v133, v71
	v_sub_f32_e32 v23, v25, v27
	v_mov_b32_e32 v26, v24
	v_fmac_f32_e32 v91, v20, v100
	v_fma_f32 v100, v16, v103, -v4
	v_fma_f32 v4, -0.5, v3, v64
	v_fmac_f32_e32 v26, 0xbf5db3d7, v23
	v_fmac_f32_e32 v24, 0x3f5db3d7, v23
	v_add_f32_e32 v23, v93, v25
	v_add_f32_e32 v25, v25, v27
	v_sub_f32_e32 v3, v70, v72
	v_mov_b32_e32 v6, v4
	v_add_f32_e32 v5, v70, v72
	v_fma_f32 v25, -0.5, v25, v93
	v_add_f32_e32 v2, v64, v133
	v_fmac_f32_e32 v6, 0xbf5db3d7, v3
	v_fmac_f32_e32 v4, 0x3f5db3d7, v3
	v_add_f32_e32 v3, v65, v70
	v_fma_f32 v5, -0.5, v5, v65
	v_add_f32_e32 v23, v23, v27
	v_sub_f32_e32 v64, v87, v90
	v_mov_b32_e32 v27, v25
	v_add_f32_e32 v65, v91, v97
	v_sub_f32_e32 v8, v133, v71
	v_mov_b32_e32 v7, v5
	v_add_f32_e32 v9, v73, v77
	v_add_f32_e32 v15, v78, v84
	v_fmac_f32_e32 v27, 0x3f5db3d7, v64
	v_fmac_f32_e32 v25, 0xbf5db3d7, v64
	v_add_f32_e32 v64, v94, v91
	v_fma_f32 v94, -0.5, v65, v94
	v_add_f32_e32 v2, v2, v71
	v_fmac_f32_e32 v7, 0x3f5db3d7, v8
	v_fmac_f32_e32 v5, 0xbf5db3d7, v8
	v_add_f32_e32 v8, v66, v73
	v_fma_f32 v66, -0.5, v9, v66
	v_fma_f32 v15, -0.5, v15, v81
	v_sub_f32_e32 v65, v96, v98
	v_mov_b32_e32 v70, v94
	v_add_f32_e32 v71, v96, v98
	v_sub_f32_e32 v9, v76, v74
	v_mov_b32_e32 v10, v66
	v_add_f32_e32 v11, v76, v74
	;; [unrolled: 3-line block ×3, first 2 shown]
	v_fmac_f32_e32 v70, 0xbf5db3d7, v65
	v_fmac_f32_e32 v94, 0x3f5db3d7, v65
	v_add_f32_e32 v65, v95, v96
	v_fmac_f32_e32 v95, -0.5, v71
	v_add_f32_e32 v3, v3, v72
	v_fmac_f32_e32 v10, 0xbf5db3d7, v9
	v_fmac_f32_e32 v66, 0x3f5db3d7, v9
	v_add_f32_e32 v9, v67, v76
	v_fmac_f32_e32 v67, -0.5, v11
	v_sub_f32_e32 v12, v73, v77
	v_fmac_f32_e32 v17, 0x3f5db3d7, v18
	v_fmac_f32_e32 v15, 0xbf5db3d7, v18
	v_add_f32_e32 v18, v82, v85
	v_fma_f32 v82, -0.5, v19, v82
	v_sub_f32_e32 v72, v91, v97
	v_mov_b32_e32 v71, v95
	v_add_f32_e32 v73, v99, v101
	v_mov_b32_e32 v11, v67
	v_add_f32_e32 v13, v75, v79
	v_sub_f32_e32 v19, v88, v86
	v_mov_b32_e32 v20, v82
	v_add_f32_e32 v21, v88, v86
	v_fmac_f32_e32 v71, 0x3f5db3d7, v72
	v_fmac_f32_e32 v95, 0xbf5db3d7, v72
	v_add_f32_e32 v72, v68, v99
	v_fma_f32 v68, -0.5, v73, v68
	v_add_f32_e32 v9, v9, v74
	v_fmac_f32_e32 v11, 0x3f5db3d7, v12
	v_fmac_f32_e32 v67, 0xbf5db3d7, v12
	v_add_f32_e32 v12, v80, v75
	v_fma_f32 v14, -0.5, v13, v80
	v_fmac_f32_e32 v20, 0xbf5db3d7, v19
	v_fmac_f32_e32 v82, 0x3f5db3d7, v19
	v_add_f32_e32 v19, v83, v88
	v_fmac_f32_e32 v83, -0.5, v21
	v_sub_f32_e32 v73, v100, v102
	v_mov_b32_e32 v74, v68
	v_add_f32_e32 v75, v100, v102
	v_sub_f32_e32 v13, v78, v84
	v_mov_b32_e32 v16, v14
	v_sub_f32_e32 v22, v85, v89
	v_mov_b32_e32 v21, v83
	v_fmac_f32_e32 v74, 0xbf5db3d7, v73
	v_fmac_f32_e32 v68, 0x3f5db3d7, v73
	v_add_f32_e32 v73, v69, v100
	v_fmac_f32_e32 v69, -0.5, v75
	v_fmac_f32_e32 v16, 0xbf5db3d7, v13
	v_fmac_f32_e32 v14, 0x3f5db3d7, v13
	v_add_f32_e32 v13, v81, v78
	v_fmac_f32_e32 v21, 0x3f5db3d7, v22
	v_fmac_f32_e32 v83, 0xbf5db3d7, v22
	v_add_f32_e32 v22, v92, v87
	v_sub_f32_e32 v76, v99, v101
	v_mov_b32_e32 v75, v69
	v_add_f32_e32 v8, v8, v77
	v_add_f32_e32 v12, v12, v79
	;; [unrolled: 1-line block ×10, first 2 shown]
	v_fmac_f32_e32 v75, 0x3f5db3d7, v76
	v_fmac_f32_e32 v69, 0xbf5db3d7, v76
	s_waitcnt lgkmcnt(0)
	; wave barrier
	ds_write2_b64 v142, v[2:3], v[6:7] offset1:13
	ds_write2_b64 v142, v[4:5], v[8:9] offset0:26 offset1:39
	ds_write2_b64 v142, v[10:11], v[66:67] offset0:52 offset1:65
	;; [unrolled: 1-line block ×3, first 2 shown]
	ds_write_b64 v146, v[14:15] offset:832
	ds_write2_b64 v147, v[18:19], v[20:21] offset0:117 offset1:130
	ds_write_b64 v147, v[82:83] offset:1144
	ds_write2_b64 v148, v[22:23], v[26:27] offset0:156 offset1:169
	;; [unrolled: 2-line block ×4, first 2 shown]
	ds_write_b64 v150, v[68:69] offset:2080
	s_waitcnt lgkmcnt(0)
	; wave barrier
	s_waitcnt lgkmcnt(0)
	ds_read2_b64 v[2:5], v142 offset1:13
	ds_read2_b64 v[6:9], v142 offset0:26 offset1:39
	ds_read2_b64 v[10:13], v142 offset0:78 offset1:91
	;; [unrolled: 1-line block ×9, first 2 shown]
	ds_read_b64 v[26:27], v142 offset:2080
	s_waitcnt lgkmcnt(9)
	v_mul_f32_e32 v80, v49, v9
	v_fmac_f32_e32 v80, v48, v8
	v_mul_f32_e32 v8, v49, v8
	v_fma_f32 v8, v48, v9, -v8
	s_waitcnt lgkmcnt(8)
	v_mul_f32_e32 v9, v51, v11
	v_fmac_f32_e32 v9, v50, v10
	v_mul_f32_e32 v10, v51, v10
	v_fma_f32 v10, v50, v11, -v10
	s_waitcnt lgkmcnt(7)
	v_mul_f32_e32 v11, v37, v17
	v_fmac_f32_e32 v11, v36, v16
	v_mul_f32_e32 v16, v37, v16
	v_fma_f32 v16, v36, v17, -v16
	s_waitcnt lgkmcnt(6)
	v_mul_f32_e32 v17, v39, v19
	v_fmac_f32_e32 v17, v38, v18
	v_mul_f32_e32 v18, v39, v18
	v_fma_f32 v18, v38, v19, -v18
	s_waitcnt lgkmcnt(5)
	v_mul_f32_e32 v19, v29, v25
	v_fmac_f32_e32 v19, v28, v24
	v_mul_f32_e32 v24, v29, v24
	v_fma_f32 v24, v28, v25, -v24
	s_waitcnt lgkmcnt(4)
	v_mul_f32_e32 v25, v31, v65
	v_mul_f32_e32 v28, v31, v64
	v_mul_f32_e32 v31, v59, v13
	v_fmac_f32_e32 v31, v58, v12
	v_mul_f32_e32 v12, v59, v12
	v_fma_f32 v36, v58, v13, -v12
	s_waitcnt lgkmcnt(2)
	v_mul_f32_e32 v12, v45, v72
	v_fma_f32 v38, v44, v73, -v12
	v_mul_f32_e32 v39, v47, v21
	v_mul_f32_e32 v12, v47, v20
	v_fmac_f32_e32 v39, v46, v20
	v_fma_f32 v20, v46, v21, -v12
	s_waitcnt lgkmcnt(1)
	v_mul_f32_e32 v21, v33, v77
	v_mul_f32_e32 v12, v33, v76
	v_fmac_f32_e32 v21, v32, v76
	v_fma_f32 v32, v32, v77, -v12
	v_mul_f32_e32 v33, v35, v67
	v_mul_f32_e32 v12, v35, v66
	;; [unrolled: 1-line block ×3, first 2 shown]
	v_fmac_f32_e32 v33, v34, v66
	v_fma_f32 v34, v34, v67, -v12
	v_mul_f32_e32 v12, v61, v70
	v_fmac_f32_e32 v37, v44, v72
	v_fma_f32 v44, v60, v71, -v12
	v_mul_f32_e32 v12, v63, v14
	v_fma_f32 v46, v62, v15, -v12
	v_mul_f32_e32 v12, v53, v74
	;; [unrolled: 2-line block ×4, first 2 shown]
	v_mul_f32_e32 v12, v41, v78
	v_fmac_f32_e32 v25, v30, v64
	v_fmac_f32_e32 v51, v40, v78
	v_fma_f32 v40, v40, v79, -v12
	s_waitcnt lgkmcnt(0)
	v_mul_f32_e32 v41, v43, v27
	v_mul_f32_e32 v12, v43, v26
	v_fma_f32 v28, v30, v65, -v28
	v_mul_f32_e32 v45, v63, v15
	v_mul_f32_e32 v49, v55, v23
	v_fmac_f32_e32 v41, v42, v26
	v_fma_f32 v42, v42, v27, -v12
	v_add_f32_e32 v12, v80, v25
	v_add_f32_e32 v15, v9, v19
	v_fmac_f32_e32 v49, v54, v22
	v_add_f32_e32 v13, v8, v28
	v_add_f32_e32 v22, v10, v24
	v_sub_f32_e32 v9, v9, v19
	v_add_f32_e32 v19, v11, v17
	v_sub_f32_e32 v11, v17, v11
	v_add_f32_e32 v17, v15, v12
	v_add_f32_e32 v23, v16, v18
	v_sub_f32_e32 v16, v18, v16
	v_add_f32_e32 v18, v22, v13
	v_add_f32_e32 v17, v19, v17
	v_mul_f32_e32 v47, v53, v75
	v_add_f32_e32 v18, v23, v18
	v_add_f32_e32 v2, v2, v17
	v_mad_u64_u32 v[0:1], s[0:1], s10, v118, 0
	v_fmac_f32_e32 v45, v62, v14
	v_fmac_f32_e32 v47, v52, v74
	v_sub_f32_e32 v14, v80, v25
	v_sub_f32_e32 v8, v8, v28
	;; [unrolled: 1-line block ×9, first 2 shown]
	v_add_f32_e32 v26, v11, v9
	v_sub_f32_e32 v28, v11, v9
	v_add_f32_e32 v3, v3, v18
	v_mov_b32_e32 v52, v2
	v_add_f32_e32 v27, v16, v10
	v_sub_f32_e32 v43, v16, v10
	v_sub_f32_e32 v11, v14, v11
	;; [unrolled: 1-line block ×4, first 2 shown]
	v_add_f32_e32 v14, v26, v14
	v_mul_f32_e32 v12, 0x3f4a47b2, v12
	v_mul_f32_e32 v13, 0x3f4a47b2, v13
	;; [unrolled: 1-line block ×5, first 2 shown]
	s_mov_b32 s0, 0xbf5ff5aa
	v_fmac_f32_e32 v52, 0xbf955555, v17
	v_mov_b32_e32 v17, v3
	s_mov_b32 s1, 0x3f3bfb3b
	s_mov_b32 s2, 0xbf3bfb3b
	v_mul_f32_e32 v29, v57, v69
	v_sub_f32_e32 v16, v8, v16
	v_add_f32_e32 v8, v27, v8
	v_mul_f32_e32 v27, 0x3f08b237, v43
	v_mul_f32_e32 v43, 0xbf5ff5aa, v10
	v_fmac_f32_e32 v17, 0xbf955555, v18
	v_fma_f32 v18, v24, s1, -v19
	v_fma_f32 v19, v25, s1, -v23
	;; [unrolled: 1-line block ×3, first 2 shown]
	v_fmac_f32_e32 v12, 0x3d64c772, v15
	v_fma_f32 v15, v25, s2, -v13
	v_fmac_f32_e32 v13, 0x3d64c772, v22
	v_fma_f32 v22, v9, s0, -v26
	v_fmac_f32_e32 v26, 0xbeae86e6, v11
	s_mov_b32 s3, 0x3eae86e6
	v_fmac_f32_e32 v29, v56, v68
	v_mul_f32_e32 v30, v57, v68
	v_mul_f32_e32 v28, 0xbf5ff5aa, v9
	v_fma_f32 v24, v10, s0, -v27
	v_fmac_f32_e32 v27, 0xbeae86e6, v16
	v_fma_f32 v16, v16, s3, -v43
	v_add_f32_e32 v43, v13, v17
	v_add_f32_e32 v19, v19, v17
	v_fmac_f32_e32 v26, 0xbee1c552, v14
	v_fmac_f32_e32 v22, 0xbee1c552, v14
	v_fma_f32 v30, v56, v69, -v30
	v_fma_f32 v25, v11, s3, -v28
	v_add_f32_e32 v28, v12, v52
	v_add_f32_e32 v18, v18, v52
	;; [unrolled: 1-line block ×4, first 2 shown]
	v_fmac_f32_e32 v27, 0xbee1c552, v8
	v_fmac_f32_e32 v24, 0xbee1c552, v8
	;; [unrolled: 1-line block ×3, first 2 shown]
	v_sub_f32_e32 v9, v43, v26
	v_add_f32_e32 v13, v22, v19
	v_sub_f32_e32 v15, v19, v22
	v_add_f32_e32 v19, v26, v43
	v_add_f32_e32 v22, v29, v33
	;; [unrolled: 1-line block ×3, first 2 shown]
	v_fmac_f32_e32 v25, 0xbee1c552, v14
	v_add_f32_e32 v8, v27, v28
	v_add_f32_e32 v10, v16, v23
	v_sub_f32_e32 v12, v18, v24
	v_add_f32_e32 v14, v24, v18
	v_sub_f32_e32 v16, v23, v16
	v_sub_f32_e32 v18, v28, v27
	v_add_f32_e32 v23, v30, v34
	v_sub_f32_e32 v24, v29, v33
	v_add_f32_e32 v27, v36, v32
	;; [unrolled: 2-line block ×3, first 2 shown]
	v_add_f32_e32 v32, v26, v22
	v_sub_f32_e32 v11, v17, v25
	v_add_f32_e32 v17, v25, v17
	v_sub_f32_e32 v25, v30, v34
	v_add_f32_e32 v30, v38, v20
	v_add_f32_e32 v33, v27, v23
	v_sub_f32_e32 v34, v26, v22
	v_sub_f32_e32 v22, v22, v29
	v_sub_f32_e32 v26, v29, v26
	v_add_f32_e32 v29, v29, v32
	v_sub_f32_e32 v21, v31, v21
	v_sub_f32_e32 v31, v39, v37
	;; [unrolled: 1-line block ×6, first 2 shown]
	v_add_f32_e32 v30, v30, v33
	v_add_f32_e32 v4, v4, v29
	;; [unrolled: 1-line block ×4, first 2 shown]
	v_sub_f32_e32 v39, v31, v21
	v_sub_f32_e32 v43, v20, v28
	v_add_f32_e32 v5, v5, v30
	v_mov_b32_e32 v52, v4
	v_sub_f32_e32 v31, v24, v31
	v_sub_f32_e32 v20, v25, v20
	;; [unrolled: 1-line block ×4, first 2 shown]
	v_add_f32_e32 v24, v37, v24
	v_add_f32_e32 v25, v38, v25
	v_mul_f32_e32 v22, 0x3f4a47b2, v22
	v_mul_f32_e32 v23, 0x3f4a47b2, v23
	;; [unrolled: 1-line block ×6, first 2 shown]
	v_fmac_f32_e32 v52, 0xbf955555, v29
	v_mov_b32_e32 v29, v5
	v_mul_f32_e32 v35, v61, v71
	v_mul_f32_e32 v39, 0xbf5ff5aa, v21
	v_mul_f32_e32 v43, 0xbf5ff5aa, v28
	v_fmac_f32_e32 v29, 0xbf955555, v30
	v_fma_f32 v30, v34, s1, -v32
	v_fma_f32 v32, v36, s1, -v33
	;; [unrolled: 1-line block ×3, first 2 shown]
	v_fmac_f32_e32 v22, 0x3d64c772, v26
	v_fma_f32 v26, v36, s2, -v23
	v_fmac_f32_e32 v23, 0x3d64c772, v27
	v_fma_f32 v27, v21, s0, -v37
	v_fma_f32 v28, v28, s0, -v38
	v_fmac_f32_e32 v38, 0xbeae86e6, v20
	v_fmac_f32_e32 v35, v60, v70
	;; [unrolled: 1-line block ×3, first 2 shown]
	v_fma_f32 v31, v31, s3, -v39
	v_fma_f32 v34, v20, s3, -v43
	v_add_f32_e32 v36, v22, v52
	v_add_f32_e32 v30, v30, v52
	;; [unrolled: 1-line block ×3, first 2 shown]
	v_fmac_f32_e32 v38, 0xbee1c552, v25
	v_fmac_f32_e32 v27, 0xbee1c552, v24
	;; [unrolled: 1-line block ×3, first 2 shown]
	v_add_f32_e32 v39, v23, v29
	v_add_f32_e32 v33, v33, v52
	;; [unrolled: 1-line block ×3, first 2 shown]
	v_fmac_f32_e32 v37, 0xbee1c552, v24
	v_fmac_f32_e32 v31, 0xbee1c552, v24
	;; [unrolled: 1-line block ×3, first 2 shown]
	v_add_f32_e32 v20, v38, v36
	v_sub_f32_e32 v24, v30, v28
	v_add_f32_e32 v25, v27, v32
	v_add_f32_e32 v26, v28, v30
	v_sub_f32_e32 v27, v32, v27
	v_sub_f32_e32 v30, v36, v38
	v_add_f32_e32 v32, v35, v41
	v_add_f32_e32 v36, v45, v51
	v_sub_f32_e32 v21, v39, v37
	v_add_f32_e32 v22, v34, v33
	v_sub_f32_e32 v23, v29, v31
	v_sub_f32_e32 v28, v33, v34
	v_add_f32_e32 v29, v31, v29
	v_add_f32_e32 v31, v37, v39
	;; [unrolled: 1-line block ×3, first 2 shown]
	v_sub_f32_e32 v34, v35, v41
	v_sub_f32_e32 v35, v44, v42
	v_add_f32_e32 v37, v46, v40
	v_sub_f32_e32 v39, v46, v40
	v_add_f32_e32 v40, v47, v49
	v_add_f32_e32 v44, v36, v32
	v_sub_f32_e32 v38, v45, v51
	v_add_f32_e32 v41, v48, v50
	v_add_f32_e32 v45, v37, v33
	v_sub_f32_e32 v46, v36, v32
	v_sub_f32_e32 v32, v32, v40
	;; [unrolled: 1-line block ×3, first 2 shown]
	v_add_f32_e32 v40, v40, v44
	v_sub_f32_e32 v42, v49, v47
	v_sub_f32_e32 v43, v50, v48
	;; [unrolled: 1-line block ×5, first 2 shown]
	v_add_f32_e32 v41, v41, v45
	v_add_f32_e32 v6, v6, v40
	;; [unrolled: 1-line block ×4, first 2 shown]
	v_sub_f32_e32 v50, v42, v38
	v_sub_f32_e32 v51, v43, v39
	;; [unrolled: 1-line block ×4, first 2 shown]
	v_add_f32_e32 v7, v7, v41
	v_mov_b32_e32 v52, v6
	v_sub_f32_e32 v42, v34, v42
	v_sub_f32_e32 v43, v35, v43
	v_add_f32_e32 v34, v48, v34
	v_add_f32_e32 v35, v49, v35
	v_mul_f32_e32 v32, 0x3f4a47b2, v32
	v_mul_f32_e32 v33, 0x3f4a47b2, v33
	;; [unrolled: 1-line block ×8, first 2 shown]
	v_fmac_f32_e32 v52, 0xbf955555, v40
	v_mov_b32_e32 v40, v7
	v_fmac_f32_e32 v40, 0xbf955555, v41
	v_fma_f32 v41, v46, s1, -v44
	v_fma_f32 v44, v47, s1, -v45
	;; [unrolled: 1-line block ×3, first 2 shown]
	v_fmac_f32_e32 v32, 0x3d64c772, v36
	v_fma_f32 v36, v47, s2, -v33
	v_fmac_f32_e32 v33, 0x3d64c772, v37
	v_fma_f32 v46, v38, s0, -v48
	;; [unrolled: 2-line block ×4, first 2 shown]
	v_fma_f32 v43, v43, s3, -v51
	v_add_f32_e32 v47, v32, v52
	v_add_f32_e32 v50, v33, v40
	;; [unrolled: 1-line block ×6, first 2 shown]
	v_fmac_f32_e32 v48, 0xbee1c552, v34
	v_fmac_f32_e32 v49, 0xbee1c552, v35
	v_fmac_f32_e32 v46, 0xbee1c552, v34
	v_fmac_f32_e32 v38, 0xbee1c552, v35
	v_fmac_f32_e32 v42, 0xbee1c552, v34
	v_fmac_f32_e32 v43, 0xbee1c552, v35
	v_add_f32_e32 v32, v49, v47
	v_sub_f32_e32 v33, v50, v48
	v_add_f32_e32 v34, v43, v44
	v_sub_f32_e32 v35, v45, v42
	v_sub_f32_e32 v36, v39, v38
	v_add_f32_e32 v37, v46, v41
	v_add_f32_e32 v38, v38, v39
	v_sub_f32_e32 v39, v41, v46
	v_sub_f32_e32 v40, v44, v43
	v_add_f32_e32 v41, v42, v45
	v_sub_f32_e32 v42, v47, v49
	v_add_f32_e32 v43, v48, v50
	ds_write2_b64 v142, v[2:3], v[4:5] offset1:13
	ds_write2_b64 v142, v[20:21], v[10:11] offset0:52 offset1:78
	ds_write2_b64 v142, v[22:23], v[12:13] offset0:91 offset1:117
	ds_write2_b64 v142, v[24:25], v[14:15] offset0:130 offset1:156
	ds_write2_b64 v142, v[26:27], v[16:17] offset0:169 offset1:195
	ds_write2_b64 v142, v[28:29], v[18:19] offset0:208 offset1:234
	ds_write_b64 v142, v[30:31] offset:1976
	ds_write2_b64 v142, v[6:7], v[8:9] offset0:26 offset1:39
	ds_write2_b64 v151, v[32:33], v[34:35] offset0:39 offset1:78
	;; [unrolled: 1-line block ×4, first 2 shown]
	s_waitcnt lgkmcnt(0)
	; wave barrier
	s_waitcnt lgkmcnt(0)
	ds_read2_b64 v[2:5], v142 offset1:21
	s_mov_b32 s2, 0x1e01e01e
	s_mov_b32 s3, 0x3f6e01e0
	v_mad_u64_u32 v[8:9], s[0:1], s8, v141, 0
	s_waitcnt lgkmcnt(0)
	v_mul_f32_e32 v6, v132, v3
	v_fmac_f32_e32 v6, v131, v2
	v_mul_f32_e32 v2, v132, v2
	v_fma_f32 v2, v131, v3, -v2
	v_cvt_f64_f32_e32 v[2:3], v2
	v_cvt_f64_f32_e32 v[6:7], v6
	v_mul_f64 v[2:3], v[2:3], s[2:3]
	v_mul_f64 v[6:7], v[6:7], s[2:3]
	v_mad_u64_u32 v[10:11], s[0:1], s11, v118, v[1:2]
	v_mov_b32_e32 v1, v9
	v_mad_u64_u32 v[11:12], s[0:1], s9, v141, v[1:2]
	v_cvt_f32_f64_e32 v6, v[6:7]
	v_cvt_f32_f64_e32 v7, v[2:3]
	v_mul_f32_e32 v2, v130, v5
	v_fmac_f32_e32 v2, v129, v4
	v_mov_b32_e32 v1, v10
	v_mov_b32_e32 v9, v11
	v_cvt_f64_f32_e32 v[10:11], v2
	v_mul_f32_e32 v2, v130, v4
	v_fma_f32 v2, v129, v5, -v2
	v_cvt_f64_f32_e32 v[4:5], v2
	v_lshlrev_b64 v[0:1], 3, v[0:1]
	v_mov_b32_e32 v3, s7
	v_add_co_u32_e64 v2, s[0:1], s6, v0
	v_lshlrev_b64 v[8:9], 3, v[8:9]
	v_addc_co_u32_e64 v3, s[0:1], v3, v1, s[0:1]
	v_mul_f64 v[0:1], v[10:11], s[2:3]
	v_mul_f64 v[10:11], v[4:5], s[2:3]
	v_add_co_u32_e64 v8, s[0:1], v2, v8
	v_addc_co_u32_e64 v9, s[0:1], v3, v9, s[0:1]
	global_store_dwordx2 v[8:9], v[6:7], off
	ds_read2_b64 v[4:7], v142 offset0:42 offset1:63
	v_cvt_f32_f64_e32 v0, v[0:1]
	v_cvt_f32_f64_e32 v1, v[10:11]
	s_mul_i32 s0, s9, 21
	s_mul_hi_u32 s1, s8, 21
	s_waitcnt lgkmcnt(0)
	v_mul_f32_e32 v10, v128, v5
	v_fmac_f32_e32 v10, v127, v4
	v_mul_f32_e32 v4, v128, v4
	v_fma_f32 v4, v127, v5, -v4
	v_cvt_f64_f32_e32 v[4:5], v4
	v_cvt_f64_f32_e32 v[10:11], v10
	s_add_i32 s1, s1, s0
	s_mul_i32 s0, s8, 21
	v_mul_f64 v[4:5], v[4:5], s[2:3]
	v_mul_f64 v[10:11], v[10:11], s[2:3]
	s_lshl_b64 s[4:5], s[0:1], 3
	v_mov_b32_e32 v16, s5
	v_add_co_u32_e64 v8, s[0:1], s4, v8
	v_addc_co_u32_e64 v9, s[0:1], v9, v16, s[0:1]
	global_store_dwordx2 v[8:9], v[0:1], off
	v_cvt_f32_f64_e32 v1, v[4:5]
	v_mul_f32_e32 v4, v124, v7
	v_fmac_f32_e32 v4, v123, v6
	v_cvt_f32_f64_e32 v0, v[10:11]
	v_cvt_f64_f32_e32 v[10:11], v4
	v_mul_f32_e32 v4, v124, v6
	v_fma_f32 v4, v123, v7, -v4
	v_cvt_f64_f32_e32 v[12:13], v4
	ds_read2_b64 v[4:7], v142 offset0:84 offset1:105
	v_mul_f64 v[10:11], v[10:11], s[2:3]
	v_add_co_u32_e64 v8, s[0:1], s4, v8
	v_mul_f64 v[12:13], v[12:13], s[2:3]
	s_waitcnt lgkmcnt(0)
	v_mul_f32_e32 v14, v122, v5
	v_fmac_f32_e32 v14, v121, v4
	v_mul_f32_e32 v4, v122, v4
	v_fma_f32 v4, v121, v5, -v4
	v_cvt_f64_f32_e32 v[4:5], v4
	v_cvt_f64_f32_e32 v[14:15], v14
	v_addc_co_u32_e64 v9, s[0:1], v9, v16, s[0:1]
	v_mul_f64 v[4:5], v[4:5], s[2:3]
	global_store_dwordx2 v[8:9], v[0:1], off
	v_cvt_f32_f64_e32 v0, v[10:11]
	v_mul_f64 v[10:11], v[14:15], s[2:3]
	v_cvt_f32_f64_e32 v1, v[12:13]
	v_add_co_u32_e64 v8, s[0:1], s4, v8
	v_addc_co_u32_e64 v9, s[0:1], v9, v16, s[0:1]
	global_store_dwordx2 v[8:9], v[0:1], off
	v_cvt_f32_f64_e32 v1, v[4:5]
	v_mul_f32_e32 v4, v126, v7
	v_fmac_f32_e32 v4, v125, v6
	v_cvt_f32_f64_e32 v0, v[10:11]
	v_cvt_f64_f32_e32 v[10:11], v4
	v_mul_f32_e32 v4, v126, v6
	v_fma_f32 v4, v125, v7, -v4
	v_cvt_f64_f32_e32 v[12:13], v4
	ds_read2_b64 v[4:7], v142 offset0:126 offset1:147
	v_mul_f64 v[10:11], v[10:11], s[2:3]
	v_add_co_u32_e64 v8, s[0:1], s4, v8
	v_mul_f64 v[12:13], v[12:13], s[2:3]
	s_waitcnt lgkmcnt(0)
	v_mul_f32_e32 v14, v120, v5
	v_fmac_f32_e32 v14, v119, v4
	v_mul_f32_e32 v4, v120, v4
	v_fma_f32 v4, v119, v5, -v4
	v_cvt_f64_f32_e32 v[4:5], v4
	v_cvt_f64_f32_e32 v[14:15], v14
	v_addc_co_u32_e64 v9, s[0:1], v9, v16, s[0:1]
	v_mul_f64 v[4:5], v[4:5], s[2:3]
	global_store_dwordx2 v[8:9], v[0:1], off
	v_cvt_f32_f64_e32 v0, v[10:11]
	v_mul_f64 v[10:11], v[14:15], s[2:3]
	v_cvt_f32_f64_e32 v1, v[12:13]
	;; [unrolled: 28-line block ×4, first 2 shown]
	v_add_co_u32_e64 v8, s[0:1], s4, v8
	v_addc_co_u32_e64 v9, s[0:1], v9, v16, s[0:1]
	global_store_dwordx2 v[8:9], v[0:1], off
	v_cvt_f32_f64_e32 v1, v[4:5]
	v_mul_f32_e32 v4, v109, v7
	v_fmac_f32_e32 v4, v108, v6
	v_cvt_f32_f64_e32 v0, v[10:11]
	v_cvt_f64_f32_e32 v[4:5], v4
	ds_read_b64 v[10:11], v142 offset:2016
	v_mul_f32_e32 v6, v109, v6
	v_fma_f32 v6, v108, v7, -v6
	v_mul_f64 v[4:5], v[4:5], s[2:3]
	v_cvt_f64_f32_e32 v[6:7], v6
	s_waitcnt lgkmcnt(0)
	v_mul_f32_e32 v12, v107, v11
	v_fmac_f32_e32 v12, v106, v10
	v_mul_f32_e32 v10, v107, v10
	v_fma_f32 v10, v106, v11, -v10
	v_cvt_f64_f32_e32 v[12:13], v12
	v_cvt_f64_f32_e32 v[10:11], v10
	v_add_co_u32_e64 v8, s[0:1], s4, v8
	v_mul_f64 v[6:7], v[6:7], s[2:3]
	v_addc_co_u32_e64 v9, s[0:1], v9, v16, s[0:1]
	global_store_dwordx2 v[8:9], v[0:1], off
	v_cvt_f32_f64_e32 v0, v[4:5]
	v_mul_f64 v[4:5], v[12:13], s[2:3]
	v_mul_f64 v[10:11], v[10:11], s[2:3]
	v_cvt_f32_f64_e32 v1, v[6:7]
	v_add_co_u32_e64 v6, s[0:1], s4, v8
	v_addc_co_u32_e64 v7, s[0:1], v9, v16, s[0:1]
	v_cvt_f32_f64_e32 v4, v[4:5]
	v_cvt_f32_f64_e32 v5, v[10:11]
	global_store_dwordx2 v[6:7], v[0:1], off
	v_add_co_u32_e64 v0, s[0:1], s4, v6
	v_addc_co_u32_e64 v1, s[0:1], v7, v16, s[0:1]
	global_store_dwordx2 v[0:1], v[4:5], off
	s_and_b64 exec, exec, vcc
	s_cbranch_execz .LBB0_15
; %bb.14:
	global_load_dwordx2 v[8:9], v[104:105], off offset:104
	ds_read2_b64 v[4:7], v142 offset0:13 offset1:34
	v_mov_b32_e32 v12, s5
	s_waitcnt vmcnt(0) lgkmcnt(0)
	v_mul_f32_e32 v10, v5, v9
	v_mul_f32_e32 v9, v4, v9
	v_fmac_f32_e32 v10, v4, v8
	v_fma_f32 v8, v8, v5, -v9
	v_cvt_f64_f32_e32 v[4:5], v10
	v_cvt_f64_f32_e32 v[8:9], v8
	v_mov_b32_e32 v10, 0xfffff888
	v_mad_u64_u32 v[0:1], s[0:1], s8, v10, v[0:1]
	v_mul_f64 v[4:5], v[4:5], s[2:3]
	v_mul_f64 v[8:9], v[8:9], s[2:3]
	s_mul_i32 s0, s9, 0xfffff888
	s_sub_i32 s0, s0, s8
	v_add_u32_e32 v1, s0, v1
	v_cvt_f32_f64_e32 v4, v[4:5]
	v_cvt_f32_f64_e32 v5, v[8:9]
	global_store_dwordx2 v[0:1], v[4:5], off
	global_load_dwordx2 v[4:5], v[104:105], off offset:272
	v_add_co_u32_e32 v0, vcc, s4, v0
	v_addc_co_u32_e32 v1, vcc, v1, v12, vcc
	s_waitcnt vmcnt(0)
	v_mul_f32_e32 v8, v7, v5
	v_mul_f32_e32 v5, v6, v5
	v_fmac_f32_e32 v8, v6, v4
	v_fma_f32 v6, v4, v7, -v5
	v_cvt_f64_f32_e32 v[4:5], v8
	v_cvt_f64_f32_e32 v[6:7], v6
	v_mul_f64 v[4:5], v[4:5], s[2:3]
	v_mul_f64 v[6:7], v[6:7], s[2:3]
	v_cvt_f32_f64_e32 v4, v[4:5]
	v_cvt_f32_f64_e32 v5, v[6:7]
	global_store_dwordx2 v[0:1], v[4:5], off
	global_load_dwordx2 v[8:9], v[104:105], off offset:440
	ds_read2_b64 v[4:7], v142 offset0:55 offset1:76
	v_add_co_u32_e32 v0, vcc, s4, v0
	v_addc_co_u32_e32 v1, vcc, v1, v12, vcc
	s_waitcnt vmcnt(0) lgkmcnt(0)
	v_mul_f32_e32 v10, v5, v9
	v_mul_f32_e32 v9, v4, v9
	v_fmac_f32_e32 v10, v4, v8
	v_fma_f32 v8, v8, v5, -v9
	v_cvt_f64_f32_e32 v[4:5], v10
	v_cvt_f64_f32_e32 v[8:9], v8
	v_mul_f64 v[4:5], v[4:5], s[2:3]
	v_mul_f64 v[8:9], v[8:9], s[2:3]
	v_cvt_f32_f64_e32 v4, v[4:5]
	v_cvt_f32_f64_e32 v5, v[8:9]
	global_store_dwordx2 v[0:1], v[4:5], off
	global_load_dwordx2 v[4:5], v[104:105], off offset:608
	v_add_co_u32_e32 v0, vcc, s4, v0
	v_addc_co_u32_e32 v1, vcc, v1, v12, vcc
	s_waitcnt vmcnt(0)
	v_mul_f32_e32 v8, v7, v5
	v_mul_f32_e32 v5, v6, v5
	v_fmac_f32_e32 v8, v6, v4
	v_fma_f32 v6, v4, v7, -v5
	v_cvt_f64_f32_e32 v[4:5], v8
	v_cvt_f64_f32_e32 v[6:7], v6
	v_mul_f64 v[4:5], v[4:5], s[2:3]
	v_mul_f64 v[6:7], v[6:7], s[2:3]
	v_cvt_f32_f64_e32 v4, v[4:5]
	v_cvt_f32_f64_e32 v5, v[6:7]
	global_store_dwordx2 v[0:1], v[4:5], off
	global_load_dwordx2 v[8:9], v[104:105], off offset:776
	ds_read2_b64 v[4:7], v142 offset0:97 offset1:118
	v_add_co_u32_e32 v0, vcc, s4, v0
	v_addc_co_u32_e32 v1, vcc, v1, v12, vcc
	s_waitcnt vmcnt(0) lgkmcnt(0)
	v_mul_f32_e32 v10, v5, v9
	v_mul_f32_e32 v9, v4, v9
	v_fmac_f32_e32 v10, v4, v8
	v_fma_f32 v8, v8, v5, -v9
	v_cvt_f64_f32_e32 v[4:5], v10
	v_cvt_f64_f32_e32 v[8:9], v8
	v_mul_f64 v[4:5], v[4:5], s[2:3]
	v_mul_f64 v[8:9], v[8:9], s[2:3]
	v_cvt_f32_f64_e32 v4, v[4:5]
	v_cvt_f32_f64_e32 v5, v[8:9]
	global_store_dwordx2 v[0:1], v[4:5], off
	global_load_dwordx2 v[4:5], v[104:105], off offset:944
	v_add_co_u32_e32 v0, vcc, s4, v0
	v_addc_co_u32_e32 v1, vcc, v1, v12, vcc
	s_waitcnt vmcnt(0)
	v_mul_f32_e32 v8, v7, v5
	v_mul_f32_e32 v5, v6, v5
	v_fmac_f32_e32 v8, v6, v4
	v_fma_f32 v6, v4, v7, -v5
	v_cvt_f64_f32_e32 v[4:5], v8
	v_cvt_f64_f32_e32 v[6:7], v6
	v_mul_f64 v[4:5], v[4:5], s[2:3]
	v_mul_f64 v[6:7], v[6:7], s[2:3]
	v_cvt_f32_f64_e32 v4, v[4:5]
	v_cvt_f32_f64_e32 v5, v[6:7]
	global_store_dwordx2 v[0:1], v[4:5], off
	global_load_dwordx2 v[8:9], v[104:105], off offset:1112
	ds_read2_b64 v[4:7], v142 offset0:139 offset1:160
	s_waitcnt vmcnt(0) lgkmcnt(0)
	v_mul_f32_e32 v10, v5, v9
	v_mul_f32_e32 v9, v4, v9
	v_fmac_f32_e32 v10, v4, v8
	v_fma_f32 v8, v8, v5, -v9
	v_cvt_f64_f32_e32 v[4:5], v10
	v_cvt_f64_f32_e32 v[8:9], v8
	v_or_b32_e32 v10, 0xa0, v141
	v_mul_f64 v[4:5], v[4:5], s[2:3]
	v_mul_f64 v[8:9], v[8:9], s[2:3]
	v_cvt_f32_f64_e32 v4, v[4:5]
	v_cvt_f32_f64_e32 v5, v[8:9]
	v_add_co_u32_e32 v8, vcc, s4, v0
	v_addc_co_u32_e32 v9, vcc, v1, v12, vcc
	global_store_dwordx2 v[8:9], v[4:5], off
	global_load_dwordx2 v[0:1], v[104:105], off offset:1280
	v_mad_u64_u32 v[4:5], s[0:1], s8, v10, 0
	s_waitcnt vmcnt(0)
	v_mul_f32_e32 v11, v7, v1
	v_mul_f32_e32 v1, v6, v1
	v_fmac_f32_e32 v11, v6, v0
	v_fma_f32 v6, v0, v7, -v1
	v_cvt_f64_f32_e32 v[6:7], v6
	v_cvt_f64_f32_e32 v[0:1], v11
	v_mul_f64 v[6:7], v[6:7], s[2:3]
	v_mul_f64 v[0:1], v[0:1], s[2:3]
	v_mad_u64_u32 v[10:11], s[0:1], s9, v10, v[5:6]
	v_cvt_f32_f64_e32 v0, v[0:1]
	v_cvt_f32_f64_e32 v1, v[6:7]
	v_mov_b32_e32 v5, v10
	v_lshlrev_b64 v[4:5], 3, v[4:5]
	v_add_co_u32_e32 v2, vcc, v2, v4
	v_addc_co_u32_e32 v3, vcc, v3, v5, vcc
	global_store_dwordx2 v[2:3], v[0:1], off
	global_load_dwordx2 v[4:5], v[104:105], off offset:1448
	ds_read2_b64 v[0:3], v142 offset0:181 offset1:202
	s_waitcnt vmcnt(0) lgkmcnt(0)
	v_mul_f32_e32 v6, v1, v5
	v_mul_f32_e32 v5, v0, v5
	v_fmac_f32_e32 v6, v0, v4
	v_fma_f32 v4, v4, v1, -v5
	v_cvt_f64_f32_e32 v[0:1], v6
	v_cvt_f64_f32_e32 v[4:5], v4
	v_mov_b32_e32 v6, 0x150
	v_mad_u64_u32 v[6:7], s[0:1], s8, v6, v[8:9]
	v_mul_f64 v[0:1], v[0:1], s[2:3]
	v_mul_f64 v[4:5], v[4:5], s[2:3]
	s_mul_i32 s0, s9, 0x150
	v_add_u32_e32 v7, s0, v7
	v_cvt_f32_f64_e32 v0, v[0:1]
	v_cvt_f32_f64_e32 v1, v[4:5]
	global_store_dwordx2 v[6:7], v[0:1], off
	global_load_dwordx2 v[0:1], v[104:105], off offset:1616
	s_waitcnt vmcnt(0)
	v_mul_f32_e32 v4, v3, v1
	v_mul_f32_e32 v1, v2, v1
	v_fmac_f32_e32 v4, v2, v0
	v_fma_f32 v2, v0, v3, -v1
	v_cvt_f64_f32_e32 v[0:1], v4
	v_cvt_f64_f32_e32 v[2:3], v2
	v_add_co_u32_e32 v4, vcc, s4, v6
	v_mul_f64 v[0:1], v[0:1], s[2:3]
	v_mul_f64 v[2:3], v[2:3], s[2:3]
	v_addc_co_u32_e32 v5, vcc, v7, v12, vcc
	v_cvt_f32_f64_e32 v0, v[0:1]
	v_cvt_f32_f64_e32 v1, v[2:3]
	global_store_dwordx2 v[4:5], v[0:1], off
	global_load_dwordx2 v[6:7], v[104:105], off offset:1784
	ds_read2_b64 v[0:3], v142 offset0:223 offset1:244
	v_add_co_u32_e32 v4, vcc, s4, v4
	v_addc_co_u32_e32 v5, vcc, v5, v12, vcc
	s_waitcnt vmcnt(0) lgkmcnt(0)
	v_mul_f32_e32 v8, v1, v7
	v_mul_f32_e32 v7, v0, v7
	v_fmac_f32_e32 v8, v0, v6
	v_fma_f32 v6, v6, v1, -v7
	v_cvt_f64_f32_e32 v[0:1], v8
	v_cvt_f64_f32_e32 v[6:7], v6
	v_mul_f64 v[0:1], v[0:1], s[2:3]
	v_mul_f64 v[6:7], v[6:7], s[2:3]
	v_cvt_f32_f64_e32 v0, v[0:1]
	v_cvt_f32_f64_e32 v1, v[6:7]
	global_store_dwordx2 v[4:5], v[0:1], off
	global_load_dwordx2 v[0:1], v[104:105], off offset:1952
	s_waitcnt vmcnt(0)
	v_mul_f32_e32 v6, v3, v1
	v_mul_f32_e32 v1, v2, v1
	v_fmac_f32_e32 v6, v2, v0
	v_fma_f32 v2, v0, v3, -v1
	v_cvt_f64_f32_e32 v[0:1], v6
	v_cvt_f64_f32_e32 v[2:3], v2
	v_mul_f64 v[0:1], v[0:1], s[2:3]
	v_mul_f64 v[2:3], v[2:3], s[2:3]
	v_cvt_f32_f64_e32 v0, v[0:1]
	v_cvt_f32_f64_e32 v1, v[2:3]
	v_add_co_u32_e32 v2, vcc, s4, v4
	v_addc_co_u32_e32 v3, vcc, v5, v12, vcc
	global_store_dwordx2 v[2:3], v[0:1], off
	global_load_dwordx2 v[0:1], v[104:105], off offset:2120
	ds_read_b64 v[4:5], v142 offset:2120
	v_add_co_u32_e32 v2, vcc, s4, v2
	v_addc_co_u32_e32 v3, vcc, v3, v12, vcc
	s_waitcnt vmcnt(0) lgkmcnt(0)
	v_mul_f32_e32 v6, v5, v1
	v_mul_f32_e32 v1, v4, v1
	v_fmac_f32_e32 v6, v4, v0
	v_fma_f32 v4, v0, v5, -v1
	v_cvt_f64_f32_e32 v[0:1], v6
	v_cvt_f64_f32_e32 v[4:5], v4
	v_mul_f64 v[0:1], v[0:1], s[2:3]
	v_mul_f64 v[4:5], v[4:5], s[2:3]
	v_cvt_f32_f64_e32 v0, v[0:1]
	v_cvt_f32_f64_e32 v1, v[4:5]
	global_store_dwordx2 v[2:3], v[0:1], off
.LBB0_15:
	s_endpgm
	.section	.rodata,"a",@progbits
	.p2align	6, 0x0
	.amdhsa_kernel bluestein_single_back_len273_dim1_sp_op_CI_CI
		.amdhsa_group_segment_fixed_size 8736
		.amdhsa_private_segment_fixed_size 0
		.amdhsa_kernarg_size 104
		.amdhsa_user_sgpr_count 6
		.amdhsa_user_sgpr_private_segment_buffer 1
		.amdhsa_user_sgpr_dispatch_ptr 0
		.amdhsa_user_sgpr_queue_ptr 0
		.amdhsa_user_sgpr_kernarg_segment_ptr 1
		.amdhsa_user_sgpr_dispatch_id 0
		.amdhsa_user_sgpr_flat_scratch_init 0
		.amdhsa_user_sgpr_private_segment_size 0
		.amdhsa_uses_dynamic_stack 0
		.amdhsa_system_sgpr_private_segment_wavefront_offset 0
		.amdhsa_system_sgpr_workgroup_id_x 1
		.amdhsa_system_sgpr_workgroup_id_y 0
		.amdhsa_system_sgpr_workgroup_id_z 0
		.amdhsa_system_sgpr_workgroup_info 0
		.amdhsa_system_vgpr_workitem_id 0
		.amdhsa_next_free_vgpr 222
		.amdhsa_next_free_sgpr 18
		.amdhsa_reserve_vcc 1
		.amdhsa_reserve_flat_scratch 0
		.amdhsa_float_round_mode_32 0
		.amdhsa_float_round_mode_16_64 0
		.amdhsa_float_denorm_mode_32 3
		.amdhsa_float_denorm_mode_16_64 3
		.amdhsa_dx10_clamp 1
		.amdhsa_ieee_mode 1
		.amdhsa_fp16_overflow 0
		.amdhsa_exception_fp_ieee_invalid_op 0
		.amdhsa_exception_fp_denorm_src 0
		.amdhsa_exception_fp_ieee_div_zero 0
		.amdhsa_exception_fp_ieee_overflow 0
		.amdhsa_exception_fp_ieee_underflow 0
		.amdhsa_exception_fp_ieee_inexact 0
		.amdhsa_exception_int_div_zero 0
	.end_amdhsa_kernel
	.text
.Lfunc_end0:
	.size	bluestein_single_back_len273_dim1_sp_op_CI_CI, .Lfunc_end0-bluestein_single_back_len273_dim1_sp_op_CI_CI
                                        ; -- End function
	.section	.AMDGPU.csdata,"",@progbits
; Kernel info:
; codeLenInByte = 23712
; NumSgprs: 22
; NumVgprs: 222
; ScratchSize: 0
; MemoryBound: 0
; FloatMode: 240
; IeeeMode: 1
; LDSByteSize: 8736 bytes/workgroup (compile time only)
; SGPRBlocks: 2
; VGPRBlocks: 55
; NumSGPRsForWavesPerEU: 22
; NumVGPRsForWavesPerEU: 222
; Occupancy: 1
; WaveLimiterHint : 1
; COMPUTE_PGM_RSRC2:SCRATCH_EN: 0
; COMPUTE_PGM_RSRC2:USER_SGPR: 6
; COMPUTE_PGM_RSRC2:TRAP_HANDLER: 0
; COMPUTE_PGM_RSRC2:TGID_X_EN: 1
; COMPUTE_PGM_RSRC2:TGID_Y_EN: 0
; COMPUTE_PGM_RSRC2:TGID_Z_EN: 0
; COMPUTE_PGM_RSRC2:TIDIG_COMP_CNT: 0
	.type	__hip_cuid_f4b417fecd1c063,@object ; @__hip_cuid_f4b417fecd1c063
	.section	.bss,"aw",@nobits
	.globl	__hip_cuid_f4b417fecd1c063
__hip_cuid_f4b417fecd1c063:
	.byte	0                               ; 0x0
	.size	__hip_cuid_f4b417fecd1c063, 1

	.ident	"AMD clang version 19.0.0git (https://github.com/RadeonOpenCompute/llvm-project roc-6.4.0 25133 c7fe45cf4b819c5991fe208aaa96edf142730f1d)"
	.section	".note.GNU-stack","",@progbits
	.addrsig
	.addrsig_sym __hip_cuid_f4b417fecd1c063
	.amdgpu_metadata
---
amdhsa.kernels:
  - .args:
      - .actual_access:  read_only
        .address_space:  global
        .offset:         0
        .size:           8
        .value_kind:     global_buffer
      - .actual_access:  read_only
        .address_space:  global
        .offset:         8
        .size:           8
        .value_kind:     global_buffer
      - .actual_access:  read_only
        .address_space:  global
        .offset:         16
        .size:           8
        .value_kind:     global_buffer
      - .actual_access:  read_only
        .address_space:  global
        .offset:         24
        .size:           8
        .value_kind:     global_buffer
      - .actual_access:  read_only
        .address_space:  global
        .offset:         32
        .size:           8
        .value_kind:     global_buffer
      - .offset:         40
        .size:           8
        .value_kind:     by_value
      - .address_space:  global
        .offset:         48
        .size:           8
        .value_kind:     global_buffer
      - .address_space:  global
        .offset:         56
        .size:           8
        .value_kind:     global_buffer
      - .address_space:  global
        .offset:         64
        .size:           8
        .value_kind:     global_buffer
      - .address_space:  global
        .offset:         72
        .size:           8
        .value_kind:     global_buffer
      - .offset:         80
        .size:           4
        .value_kind:     by_value
      - .address_space:  global
        .offset:         88
        .size:           8
        .value_kind:     global_buffer
      - .address_space:  global
        .offset:         96
        .size:           8
        .value_kind:     global_buffer
    .group_segment_fixed_size: 8736
    .kernarg_segment_align: 8
    .kernarg_segment_size: 104
    .language:       OpenCL C
    .language_version:
      - 2
      - 0
    .max_flat_workgroup_size: 52
    .name:           bluestein_single_back_len273_dim1_sp_op_CI_CI
    .private_segment_fixed_size: 0
    .sgpr_count:     22
    .sgpr_spill_count: 0
    .symbol:         bluestein_single_back_len273_dim1_sp_op_CI_CI.kd
    .uniform_work_group_size: 1
    .uses_dynamic_stack: false
    .vgpr_count:     222
    .vgpr_spill_count: 0
    .wavefront_size: 64
amdhsa.target:   amdgcn-amd-amdhsa--gfx906
amdhsa.version:
  - 1
  - 2
...

	.end_amdgpu_metadata
